;; amdgpu-corpus repo=ROCm/aiter kind=harvested arch=n/a opt=n/a

/root/src/amdgpu-assembly/repos/ROCm__aiter/hsa/gfx942/fmoe/silu/fmoe_bf16_pertokenInt8_g1u1_multix_silu_1tg_ps_32x128.co:	file format elf64-amdgpu

Disassembly of section .text:

0000000000002e00 <_ZN5aiter53fmoe_bf16_pertokenInt8_g1u1_multix_silu_1tg_ps_32x128E>:
	v_lshrrev_b32_e32 v1, 10, v0                               // 000000002E00: 2002008A
	v_lshrrev_b32_e32 v2, 10, v1                               // 000000002E04: 2004028A
	v_and_b32_e32 v2, 0x3ff, v2                                // 000000002E08: 260404FF 000003FF
	v_and_b32_e32 v1, 0x3ff, v1                                // 000000002E10: 260202FF 000003FF
	v_and_b32_e32 v0, 0x3ff, v0                                // 000000002E18: 260000FF 000003FF
	v_lshrrev_b32_e32 v3, 6, v0                                // 000000002E20: 20060086
	v_and_b32_e32 v0, 63, v0                                   // 000000002E24: 260000BF
	s_mov_b32 s2, s2                                           // 000000002E28: BE820002
	s_mov_b32 s3, s3                                           // 000000002E2C: BE830003
	s_mov_b32 s4, s4                                           // 000000002E30: BE840004
	s_mov_b32 s99, s2                                          // 000000002E34: BEE30002
	v_readfirstlane_b32 s7, v3                                 // 000000002E38: 7E0E0503
	s_and_b32 s1, s1, 0xffff                                   // 000000002E3C: 8601FF01 0000FFFF
	s_mov_b32 s96, 0                                           // 000000002E44: BEE00080
	s_mov_b32 s97, 0                                           // 000000002E48: BEE10080
	s_mov_b32 s100, 0                                          // 000000002E4C: BEE40080
	s_load_dword s96, s[0:1], 0x1a0                            // 000000002E50: C0021800 000001A0
	s_load_dword s97, s[0:1], 0x1b0                            // 000000002E58: C0021840 000001B0
	s_waitcnt lgkmcnt(0)                                       // 000000002E60: BF8CC07F
	s_cmp_eq_u32 s96, 0                                        // 000000002E64: BF068060
	s_cbranch_scc1 label_005C                                  // 000000002E68: BF850041
	v_cvt_f32_u32_e32 v44, s97                                 // 000000002E6C: 7E580C61
	s_sub_i32 s60, 0, s97                                      // 000000002E70: 81BC6180
	v_rcp_iflag_f32_e32 v44, v44                               // 000000002E74: 7E58472C
	s_nop 0                                                    // 000000002E78: BF800000
	v_mul_f32_e32 v44, 0x4f7ffffe, v44                         // 000000002E7C: 0A5858FF 4F7FFFFE
	v_cvt_u32_f32_e32 v44, v44                                 // 000000002E84: 7E580F2C
	v_mul_lo_u32 v45, s60, v44                                 // 000000002E88: D285002D 0002583C
	v_mul_hi_u32 v45, v44, v45                                 // 000000002E90: D286002D 00025B2C
	v_add_u32_e32 v44, v44, v45                                // 000000002E98: 68585B2C
	v_mul_hi_u32 v44, s96, v44                                 // 000000002E9C: D286002C 00025860
	v_mul_lo_u32 v45, v44, s97                                 // 000000002EA4: D285002D 0000C32C
	v_sub_u32_e32 v47, s96, v45                                // 000000002EAC: 6A5E5A60
	v_add_u32_e32 v46, 1, v44                                  // 000000002EB0: 685C5881
	v_cmp_le_u32_e32 vcc, s97, v47                             // 000000002EB4: 7D965E61
	v_subrev_u32_e32 v45, s97, v47                             // 000000002EB8: 6C5A5E61
	s_nop 0                                                    // 000000002EBC: BF800000
	v_cndmask_b32_e32 v44, v44, v46, vcc                       // 000000002EC0: 00585D2C
	v_cndmask_b32_e32 v47, v47, v45, vcc                       // 000000002EC4: 005E5B2F
	v_add_u32_e32 v45, 1, v44                                  // 000000002EC8: 685A5881
	v_cmp_le_u32_e32 vcc, s97, v47                             // 000000002ECC: 7D965E61
	s_nop 1                                                    // 000000002ED0: BF800001
	v_cndmask_b32_e32 v47, v44, v45, vcc                       // 000000002ED4: 005E5B2C
	s_nop 3                                                    // 000000002ED8: BF800003
	v_readfirstlane_b32 s98, v47                               // 000000002EDC: 7EC4052F
	s_nop 3                                                    // 000000002EE0: BF800003

0000000000002ee4 <label_0039>:
	s_mov_b32 s4, 0                                            // 000000002EE4: BE840080
	v_cvt_f32_u32_e32 v44, s97                                 // 000000002EE8: 7E580C61
	s_sub_i32 s60, 0, s97                                      // 000000002EEC: 81BC6180
	v_rcp_iflag_f32_e32 v44, v44                               // 000000002EF0: 7E58472C
	s_nop 0                                                    // 000000002EF4: BF800000
	v_mul_f32_e32 v44, 0x4f7ffffe, v44                         // 000000002EF8: 0A5858FF 4F7FFFFE
	v_cvt_u32_f32_e32 v44, v44                                 // 000000002F00: 7E580F2C
	v_mul_lo_u32 v45, s60, v44                                 // 000000002F04: D285002D 0002583C
	v_mul_hi_u32 v45, v44, v45                                 // 000000002F0C: D286002D 00025B2C
	v_add_u32_e32 v44, v44, v45                                // 000000002F14: 68585B2C
	v_mul_hi_u32 v44, s99, v44                                 // 000000002F18: D286002C 00025863
	v_mul_lo_u32 v45, v44, s97                                 // 000000002F20: D285002D 0000C32C
	v_sub_u32_e32 v47, s99, v45                                // 000000002F28: 6A5E5A63
	v_add_u32_e32 v46, 1, v44                                  // 000000002F2C: 685C5881
	v_cmp_le_u32_e32 vcc, s97, v47                             // 000000002F30: 7D965E61
	v_subrev_u32_e32 v45, s97, v47                             // 000000002F34: 6C5A5E61
	s_nop 0                                                    // 000000002F38: BF800000
	v_cndmask_b32_e32 v44, v44, v46, vcc                       // 000000002F3C: 00585D2C
	v_cndmask_b32_e32 v47, v47, v45, vcc                       // 000000002F40: 005E5B2F
	v_add_u32_e32 v45, 1, v44                                  // 000000002F44: 685A5881
	v_cmp_le_u32_e32 vcc, s97, v47                             // 000000002F48: 7D965E61
	s_nop 1                                                    // 000000002F4C: BF800001
	v_cndmask_b32_e32 v47, v44, v45, vcc                       // 000000002F50: 005E5B2C
	s_nop 3                                                    // 000000002F54: BF800003
	v_readfirstlane_b32 s3, v47                                // 000000002F58: 7E06052F
	s_nop 3                                                    // 000000002F5C: BF800003
	s_mul_i32 s60, s3, s97                                     // 000000002F60: 923C6103
	s_sub_u32 s2, s99, s60                                     // 000000002F64: 80823C63
	s_mul_i32 s60, s98, s100                                   // 000000002F68: 923C6462
	s_add_i32 s3, s3, s60                                      // 000000002F6C: 81033C03

0000000000002f70 <label_005C>:
	s_and_b32 s1, s1, 0xffff                                   // 000000002F70: 8601FF01 0000FFFF
	s_load_dwordx2 s[8:9], s[0:1], 0x0                         // 000000002F78: C0060200 00000000
	s_load_dwordx2 s[20:21], s[0:1], 0x10                      // 000000002F80: C0060500 00000010
	s_load_dwordx2 s[24:25], s[0:1], 0x20                      // 000000002F88: C0060600 00000020
	s_load_dwordx2 s[50:51], s[0:1], 0x30                      // 000000002F90: C0060C80 00000030
	s_load_dwordx2 s[12:13], s[0:1], 0x40                      // 000000002F98: C0060300 00000040
	s_load_dwordx2 s[28:29], s[0:1], 0x50                      // 000000002FA0: C0060700 00000050
	s_load_dwordx2 s[32:33], s[0:1], 0x60                      // 000000002FA8: C0060800 00000060
	s_load_dwordx2 s[16:17], s[0:1], 0x70                      // 000000002FB0: C0060400 00000070
	s_load_dwordx2 s[36:37], s[0:1], 0x80                      // 000000002FB8: C0060900 00000080
	s_load_dwordx2 s[44:45], s[0:1], 0x90                      // 000000002FC0: C0060B00 00000090
	s_load_dwordx2 s[40:41], s[0:1], 0xa0                      // 000000002FC8: C0060A00 000000A0
	s_load_dwordx2 s[46:47], s[0:1], 0xb0                      // 000000002FD0: C0060B80 000000B0
	s_load_dword s64, s[0:1], 0xc0                             // 000000002FD8: C0021000 000000C0
	s_load_dword s65, s[0:1], 0xd0                             // 000000002FE0: C0021040 000000D0
	s_load_dword s67, s[0:1], 0xf0                             // 000000002FE8: C00210C0 000000F0
	s_load_dword s68, s[0:1], 0x100                            // 000000002FF0: C0021100 00000100
	s_load_dword s69, s[0:1], 0x110                            // 000000002FF8: C0021140 00000110
	s_load_dword s70, s[0:1], 0x120                            // 000000003000: C0021180 00000120
	s_load_dword s71, s[0:1], 0x130                            // 000000003008: C00211C0 00000130
	s_load_dword s72, s[0:1], 0x140                            // 000000003010: C0021200 00000140
	s_load_dword s73, s[0:1], 0x150                            // 000000003018: C0021240 00000150
	s_load_dword s74, s[0:1], 0x160                            // 000000003020: C0021280 00000160
	s_load_dword s75, s[0:1], 0x170                            // 000000003028: C00212C0 00000170
	s_load_dword s76, s[0:1], 0x180                            // 000000003030: C0021300 00000180
	s_load_dword s63, s[0:1], 0x190                            // 000000003038: C0020FC0 00000190
	s_mov_b32 s2, s2                                           // 000000003040: BE820002
	s_mov_b32 s3, s3                                           // 000000003044: BE830003
	s_mov_b32 s4, s4                                           // 000000003048: BE840004
	s_waitcnt lgkmcnt(0)                                       // 00000000304C: BF8CC07F
	s_and_b32 s51, s51, 0xffff                                 // 000000003050: 8633FF33 0000FFFF
	s_load_dword s66, s[50:51], 0x4                            // 000000003058: C0021099 00000004
	s_load_dword s50, s[50:51], 0x0                            // 000000003060: C0020C99 00000000
	s_waitcnt lgkmcnt(0)                                       // 000000003068: BF8CC07F
	s_and_b32 s45, s45, 0xffff                                 // 00000000306C: 862DFF2D 0000FFFF
	s_and_b32 s47, s47, 0xffff                                 // 000000003074: 862FFF2F 0000FFFF
	s_and_b32 s9, s9, 0xffff                                   // 00000000307C: 8609FF09 0000FFFF
	s_mul_i32 s60, s66, s68                                    // 000000003084: 923C4442
	s_mul_i32 s60, s63, s60                                    // 000000003088: 923C3C3F
	s_mul_i32 s61, s66, 4                                      // 00000000308C: 923D8442
	s_mul_i32 s61, s63, s61                                    // 000000003090: 923D3D3F
	s_mov_b32 s22, s60                                         // 000000003094: BE96003C
	s_mov_b32 s26, -16                                         // 000000003098: BE9A00D0
	s_mov_b32 s14, -16                                         // 00000000309C: BE8E00D0
	s_mov_b32 s42, -16                                         // 0000000030A0: BEAA00D0
	s_mov_b32 s30, s61                                         // 0000000030A4: BE9E003D
	s_mov_b32 s34, 0x200                                       // 0000000030A8: BEA200FF 00000200
	s_mov_b32 s38, 0x200                                       // 0000000030B0: BEA600FF 00000200
	s_mov_b32 s18, -16                                         // 0000000030B8: BE9200D0
	s_mov_b32 s23, 0x20000                                     // 0000000030BC: BE9700FF 00020000
	s_mov_b32 s27, 0x20000                                     // 0000000030C4: BE9B00FF 00020000
	s_mov_b32 s15, 0x20000                                     // 0000000030CC: BE8F00FF 00020000
	s_mov_b32 s43, 0x20000                                     // 0000000030D4: BEAB00FF 00020000
	s_mov_b32 s31, 0x20000                                     // 0000000030DC: BE9F00FF 00020000
	s_mov_b32 s35, 0x20000                                     // 0000000030E4: BEA300FF 00020000
	s_mov_b32 s39, 0x20000                                     // 0000000030EC: BEA700FF 00020000
	s_mov_b32 s19, 0x20000                                     // 0000000030F4: BE9300FF 00020000
	s_and_b32 s21, s21, 0xffff                                 // 0000000030FC: 8615FF15 0000FFFF
	s_and_b32 s25, s25, 0xffff                                 // 000000003104: 8619FF19 0000FFFF
	s_and_b32 s13, s13, 0xffff                                 // 00000000310C: 860DFF0D 0000FFFF
	s_and_b32 s41, s41, 0xffff                                 // 000000003114: 8629FF29 0000FFFF
	s_and_b32 s29, s29, 0xffff                                 // 00000000311C: 861DFF1D 0000FFFF
	s_and_b32 s33, s33, 0xffff                                 // 000000003124: 8621FF21 0000FFFF
	s_and_b32 s37, s37, 0xffff                                 // 00000000312C: 8625FF25 0000FFFF
	s_and_b32 s17, s17, 0xffff                                 // 000000003134: 8611FF11 0000FFFF
	s_or_b32 s21, s21, 0x40000                                 // 00000000313C: 8715FF15 00040000
	s_or_b32 s25, s25, 0x40000                                 // 000000003144: 8719FF19 00040000
	s_or_b32 s13, s13, 0x40000                                 // 00000000314C: 870DFF0D 00040000
	s_or_b32 s41, s41, 0x40000                                 // 000000003154: 8729FF29 00040000
	s_or_b32 s29, s29, 0x40000                                 // 00000000315C: 871DFF1D 00040000
	s_or_b32 s33, s33, 0x40000                                 // 000000003164: 8721FF21 00040000
	s_or_b32 s37, s37, 0x40000                                 // 00000000316C: 8725FF25 00040000
	s_or_b32 s17, s17, 0x40000                                 // 000000003174: 8711FF11 00040000
	v_accvgpr_write_b32 a63, 0                                 // 00000000317C: D3D9403F 18000080
	v_mov_b32_e32 v207, 0                                      // 000000003184: 7F9E0280
	s_waitcnt lgkmcnt(0)                                       // 000000003188: BF8CC07F
	s_mul_i32 s60, s3, 32                                      // 00000000318C: 923CA003
	s_cmp_lt_i32 s60, s50                                      // 000000003190: BF04323C
	s_cbranch_scc0 label_1405                                  // 000000003194: BF84131F
	s_mov_b32 s80, 0                                           // 000000003198: BED00080
	s_mov_b32 s81, s64                                         // 00000000319C: BED10040
	s_mul_i32 s60, s3, 4                                       // 0000000031A0: 923C8403
	s_add_u32 s46, s60, s46                                    // 0000000031A4: 802E2E3C
	s_addc_u32 s47, 0, s47                                     // 0000000031A8: 822F2F80
	s_load_dword s5, s[46:47], 0x0                             // 0000000031AC: C0020157 00000000
	s_mul_i32 s60, s3, 32                                      // 0000000031B4: 923CA003
	s_mul_i32 s60, 4, s60                                      // 0000000031B8: 923C3C84
	v_and_b32_e32 v44, 15, v0                                  // 0000000031BC: 2658008F
	v_lshlrev_b32_e32 v44, 2, v44                              // 0000000031C0: 24585882
	v_add_u32_e32 v44, s60, v44                                // 0000000031C4: 6858583C
	v_mov_b32_e32 v45, 0                                       // 0000000031C8: 7E5A0280
	global_load_dword v6, v44, s[44:45]                        // 0000000031CC: DC508000 062C002C
	v_add_u32_e32 v44, 64, v44                                 // 0000000031D4: 685858C0
	global_load_dword v7, v44, s[44:45]                        // 0000000031D8: DC508000 072C002C
	s_mul_i32 s60, s3, 32                                      // 0000000031E0: 923CA003
	s_add_u32 s60, s7, s60                                     // 0000000031E4: 803C3C07
	s_mul_i32 s60, 4, s60                                      // 0000000031E8: 923C3C84
	s_add_u32 s44, s60, s44                                    // 0000000031EC: 802C2C3C
	s_addc_u32 s45, 0, s45                                     // 0000000031F0: 822D2D80
	s_load_dword s82, s[44:45], 0x0                            // 0000000031F4: C0021496 00000000
	s_load_dword s83, s[44:45], 0x10                           // 0000000031FC: C00214D6 00000010
	s_load_dword s84, s[44:45], 0x20                           // 000000003204: C0021516 00000020
	s_load_dword s85, s[44:45], 0x30                           // 00000000320C: C0021556 00000030
	s_load_dword s86, s[44:45], 0x40                           // 000000003214: C0021596 00000040
	s_load_dword s87, s[44:45], 0x50                           // 00000000321C: C00215D6 00000050
	s_load_dword s88, s[44:45], 0x60                           // 000000003224: C0021616 00000060
	s_load_dword s89, s[44:45], 0x70                           // 00000000322C: C0021656 00000070
	s_waitcnt lgkmcnt(0)                                       // 000000003234: BF8CC07F
	v_lshlrev_b32_e32 v44, 2, v0                               // 000000003238: 24580082
	s_lshr_b32 s61, s82, 24                                    // 00000000323C: 8F3D9852
	s_mul_i32 s61, s61, s68                                    // 000000003240: 923D443D
	s_mul_i32 s61, s61, s66                                    // 000000003244: 923D423D
	s_and_b32 s82, s82, 0xffffff                               // 000000003248: 8652FF52 00FFFFFF
	s_mul_i32 s60, s82, s68                                    // 000000003250: 923C4452
	s_add_u32 s60, s61, s60                                    // 000000003254: 803C3C3D
	v_add_u32_e64 v24, v44, s60                                // 000000003258: D1340018 0000792C
	s_lshr_b32 s61, s83, 24                                    // 000000003260: 8F3D9853
	s_mul_i32 s61, s61, s68                                    // 000000003264: 923D443D
	s_mul_i32 s61, s61, s66                                    // 000000003268: 923D423D
	s_and_b32 s83, s83, 0xffffff                               // 00000000326C: 8653FF53 00FFFFFF
	s_mul_i32 s60, s83, s68                                    // 000000003274: 923C4453
	s_add_u32 s60, s61, s60                                    // 000000003278: 803C3C3D
	v_add_u32_e64 v25, v44, s60                                // 00000000327C: D1340019 0000792C
	s_lshr_b32 s61, s84, 24                                    // 000000003284: 8F3D9854
	s_mul_i32 s61, s61, s68                                    // 000000003288: 923D443D
	s_mul_i32 s61, s61, s66                                    // 00000000328C: 923D423D
	s_and_b32 s84, s84, 0xffffff                               // 000000003290: 8654FF54 00FFFFFF
	s_mul_i32 s60, s84, s68                                    // 000000003298: 923C4454
	s_add_u32 s60, s61, s60                                    // 00000000329C: 803C3C3D
	v_add_u32_e64 v26, v44, s60                                // 0000000032A0: D134001A 0000792C
	s_lshr_b32 s61, s85, 24                                    // 0000000032A8: 8F3D9855
	s_mul_i32 s61, s61, s68                                    // 0000000032AC: 923D443D
	s_mul_i32 s61, s61, s66                                    // 0000000032B0: 923D423D
	s_and_b32 s85, s85, 0xffffff                               // 0000000032B4: 8655FF55 00FFFFFF
	s_mul_i32 s60, s85, s68                                    // 0000000032BC: 923C4455
	s_add_u32 s60, s61, s60                                    // 0000000032C0: 803C3C3D
	v_add_u32_e64 v27, v44, s60                                // 0000000032C4: D134001B 0000792C
	s_lshr_b32 s61, s86, 24                                    // 0000000032CC: 8F3D9856
	s_mul_i32 s61, s61, s68                                    // 0000000032D0: 923D443D
	s_mul_i32 s61, s61, s66                                    // 0000000032D4: 923D423D
	s_and_b32 s86, s86, 0xffffff                               // 0000000032D8: 8656FF56 00FFFFFF
	s_mul_i32 s60, s86, s68                                    // 0000000032E0: 923C4456
	s_add_u32 s60, s61, s60                                    // 0000000032E4: 803C3C3D
	v_add_u32_e64 v28, v44, s60                                // 0000000032E8: D134001C 0000792C
	s_lshr_b32 s61, s87, 24                                    // 0000000032F0: 8F3D9857
	s_mul_i32 s61, s61, s68                                    // 0000000032F4: 923D443D
	s_mul_i32 s61, s61, s66                                    // 0000000032F8: 923D423D
	s_and_b32 s87, s87, 0xffffff                               // 0000000032FC: 8657FF57 00FFFFFF
	s_mul_i32 s60, s87, s68                                    // 000000003304: 923C4457
	s_add_u32 s60, s61, s60                                    // 000000003308: 803C3C3D
	v_add_u32_e64 v29, v44, s60                                // 00000000330C: D134001D 0000792C
	s_lshr_b32 s61, s88, 24                                    // 000000003314: 8F3D9858
	s_mul_i32 s61, s61, s68                                    // 000000003318: 923D443D
	s_mul_i32 s61, s61, s66                                    // 00000000331C: 923D423D
	s_and_b32 s88, s88, 0xffffff                               // 000000003320: 8658FF58 00FFFFFF
	s_mul_i32 s60, s88, s68                                    // 000000003328: 923C4458
	s_add_u32 s60, s61, s60                                    // 00000000332C: 803C3C3D
	v_add_u32_e64 v30, v44, s60                                // 000000003330: D134001E 0000792C
	s_lshr_b32 s61, s89, 24                                    // 000000003338: 8F3D9859
	s_mul_i32 s61, s61, s68                                    // 00000000333C: 923D443D
	s_mul_i32 s61, s61, s66                                    // 000000003340: 923D423D
	s_and_b32 s89, s89, 0xffffff                               // 000000003344: 8659FF59 00FFFFFF
	s_mul_i32 s60, s89, s68                                    // 00000000334C: 923C4459
	s_add_u32 s60, s61, s60                                    // 000000003350: 803C3C3D
	v_add_u32_e64 v31, v44, s60                                // 000000003354: D134001F 0000792C
	v_lshlrev_b32_e32 v44, 2, v0                               // 00000000335C: 24580082
	s_mul_i32 s60, s82, s71                                    // 000000003360: 923C4752
	v_add_u32_e64 v80, v44, s60                                // 000000003364: D1340050 0000792C
	v_mov_b32_e32 v81, 0                                       // 00000000336C: 7EA20280
	s_mul_i32 s60, s83, s71                                    // 000000003370: 923C4753
	v_add_u32_e64 v82, v44, s60                                // 000000003374: D1340052 0000792C
	v_mov_b32_e32 v83, 0                                       // 00000000337C: 7EA60280
	s_mul_i32 s60, s84, s71                                    // 000000003380: 923C4754
	v_add_u32_e64 v84, v44, s60                                // 000000003384: D1340054 0000792C
	v_mov_b32_e32 v85, 0                                       // 00000000338C: 7EAA0280
	s_mul_i32 s60, s85, s71                                    // 000000003390: 923C4755
	v_add_u32_e64 v86, v44, s60                                // 000000003394: D1340056 0000792C
	v_mov_b32_e32 v87, 0                                       // 00000000339C: 7EAE0280
	s_mul_i32 s60, s86, s71                                    // 0000000033A0: 923C4756
	v_add_u32_e64 v88, v44, s60                                // 0000000033A4: D1340058 0000792C
	v_mov_b32_e32 v89, 0                                       // 0000000033AC: 7EB20280
	s_mul_i32 s60, s87, s71                                    // 0000000033B0: 923C4757
	v_add_u32_e64 v90, v44, s60                                // 0000000033B4: D134005A 0000792C
	v_mov_b32_e32 v91, 0                                       // 0000000033BC: 7EB60280
	s_mul_i32 s60, s88, s71                                    // 0000000033C0: 923C4758
	v_add_u32_e64 v92, v44, s60                                // 0000000033C4: D134005C 0000792C
	v_mov_b32_e32 v93, 0                                       // 0000000033CC: 7EBA0280
	s_mul_i32 s60, s89, s71                                    // 0000000033D0: 923C4759
	v_add_u32_e64 v94, v44, s60                                // 0000000033D4: D134005E 0000792C
	v_mov_b32_e32 v95, 0                                       // 0000000033DC: 7EBE0280
	s_mul_i32 s60, s7, 0x820                                   // 0000000033E0: 923CFF07 00000820
	s_add_u32 s50, 0, s60                                      // 0000000033E8: 80323C80
	s_add_u32 s51, 0x2080, s50                                 // 0000000033EC: 803332FF 00002080
	v_lshrrev_b32_e32 v44, 4, v0                               // 0000000033F4: 20580084
	v_lshlrev_b32_e32 v45, 2, v44                              // 0000000033F8: 245A5882
	v_and_b32_e32 v44, 15, v0                                  // 0000000033FC: 2658008F
	v_lshrrev_b32_e32 v46, 2, v44                              // 000000003400: 205C5882
	v_lshlrev_b32_e32 v46, 6, v46                              // 000000003404: 245C5C86
	v_add_u32_e32 v45, v46, v45                                // 000000003408: 685A5B2E
	v_and_b32_e32 v44, 3, v0                                   // 00000000340C: 26580083
	v_mul_i32_i24_e32 v46, 0x208, v44                          // 000000003410: 0C5C58FF 00000208
	v_add_u32_e32 v45, v46, v45                                // 000000003418: 685A5B2E
	v_lshlrev_b32_e32 v2, 2, v45                               // 00000000341C: 24045A82
	s_mul_i32 s60, s2, 0x80                                    // 000000003420: 923CFF02 00000080
	s_mul_i32 s60, s60, s69                                    // 000000003428: 923C453C
	s_mul_i32 s61, s5, s72                                     // 00000000342C: 923D4805
	s_add_u32 s60, s61, s60                                    // 000000003430: 803C3C3D
	s_add_u32 s24, s60, s24                                    // 000000003434: 8018183C
	s_addc_u32 s25, 0, s25                                     // 000000003438: 82191980
	s_mul_i32 s60, s7, 16                                      // 00000000343C: 923C9007
	s_mul_i32 s60, s60, s69                                    // 000000003440: 923C453C
	v_lshlrev_b32_e32 v32, 4, v0                               // 000000003444: 24400084
	v_add_u32_e32 v32, s60, v32                                // 000000003448: 6840403C
	s_mul_i32 s60, 64, s69                                     // 00000000344C: 923C45C0
	v_add_u32_e32 v33, s60, v32                                // 000000003450: 6842403C
	s_mov_b32 s92, s24                                         // 000000003454: BEDC0018
	s_mov_b32 s93, s25                                         // 000000003458: BEDD0019
	s_mov_b32 s94, s26                                         // 00000000345C: BEDE001A
	s_mov_b32 s95, s27                                         // 000000003460: BEDF001B
	s_mul_i32 s60, s69, s65                                    // 000000003464: 923C4145
	s_add_u32 s92, s60, s92                                    // 000000003468: 805C5C3C
	s_addc_u32 s93, 0, s93                                     // 00000000346C: 825D5D80
	s_mul_i32 s60, s2, 0x800                                   // 000000003470: 923CFF02 00000800
	s_mul_i32 s61, s5, s73                                     // 000000003478: 923D4905
	s_add_u32 s60, s61, s60                                    // 00000000347C: 803C3C3D
	s_add_u32 s12, s60, s12                                    // 000000003480: 800C0C3C
	s_addc_u32 s13, 0, s13                                     // 000000003484: 820D0D80
	s_mul_i32 s60, s7, 16                                      // 000000003488: 923C9007
	s_mul_i32 s60, s60, s70                                    // 00000000348C: 923C463C
	v_lshlrev_b32_e32 v34, 4, v0                               // 000000003490: 24440084
	v_add_u32_e32 v34, s60, v34                                // 000000003494: 6844443C
	s_mul_i32 s60, 64, s70                                     // 000000003498: 923C46C0
	v_add_u32_e32 v35, s60, v34                                // 00000000349C: 6846443C
	v_add_u32_e32 v36, s60, v35                                // 0000000034A0: 6848463C
	v_add_u32_e32 v37, s60, v36                                // 0000000034A4: 684A483C
	s_mul_i32 s60, s70, 0x100                                  // 0000000034A8: 923CFF46 00000100
	s_mov_b32 s78, 0x400                                       // 0000000034B0: BECE00FF 00000400
	s_mul_i32 s61, s78, 1                                      // 0000000034B8: 923D814E
	s_sub_u32 s56, s60, s61                                    // 0000000034BC: 80B83D3C
	s_mul_i32 s60, s3, 32                                      // 0000000034C0: 923CA003
	s_mul_i32 s60, 4, s60                                      // 0000000034C4: 923C3C84
	s_add_u32 s40, s60, s40                                    // 0000000034C8: 8028283C
	s_addc_u32 s41, 0, s41                                     // 0000000034CC: 82292980
	v_and_b32_e32 v44, 15, v0                                  // 0000000034D0: 2658008F
	v_lshlrev_b32_e32 v8, 2, v44                               // 0000000034D4: 24105882
	v_add_u32_e32 v9, 64, v8                                   // 0000000034D8: 681210C0
	v_lshrrev_b32_e32 v44, 4, v0                               // 0000000034DC: 20580084
	v_lshlrev_b32_e32 v45, 2, v44                              // 0000000034E0: 245A5882
	v_and_b32_e32 v44, 15, v0                                  // 0000000034E4: 2658008F
	v_lshrrev_b32_e32 v46, 2, v44                              // 0000000034E8: 205C5882
	v_lshlrev_b32_e32 v46, 6, v46                              // 0000000034EC: 245C5C86
	v_add_u32_e32 v45, v46, v45                                // 0000000034F0: 685A5B2E
	v_and_b32_e32 v44, 3, v0                                   // 0000000034F4: 26580083
	v_add_u32_e32 v45, v44, v45                                // 0000000034F8: 685A5B2C
	v_lshlrev_b32_e32 v10, 2, v45                              // 0000000034FC: 24145A82
	v_add_u32_e32 v11, 0x400, v10                              // 000000003500: 681614FF 00000400
	s_mul_i32 s60, s7, 16                                      // 000000003508: 923C9007
	s_mul_i32 s60, s60, 4                                      // 00000000350C: 923C843C
	v_add_u32_e32 v10, s60, v10                                // 000000003510: 6814143C
	v_add_u32_e32 v11, s60, v11                                // 000000003514: 6816163C
	v_mov_b32_e32 v5, v10                                      // 000000003518: 7E0A030A
	s_mul_i32 s60, s2, 0x80                                    // 00000000351C: 923CFF02 00000080
	s_mul_i32 s60, s60, 4                                      // 000000003524: 923C843C
	s_mul_i32 s61, s5, s74                                     // 000000003528: 923D4A05
	s_add_u32 s61, s61, s60                                    // 00000000352C: 803D3C3D
	s_mul_i32 s62, s5, s76                                     // 000000003530: 923E4C05
	s_add_u32 s62, s62, s60                                    // 000000003534: 803E3C3E
	s_add_u32 s32, s61, s32                                    // 000000003538: 8020203D
	s_addc_u32 s33, 0, s33                                     // 00000000353C: 82212180
	s_add_u32 s36, s62, s36                                    // 000000003540: 8024243E
	s_addc_u32 s37, 0, s37                                     // 000000003544: 82252580
	s_mul_i32 s60, s5, s75                                     // 000000003548: 923C4B05
	s_add_u32 s16, s60, s16                                    // 00000000354C: 8010103C
	s_addc_u32 s17, 0, s17                                     // 000000003550: 82111180
	s_mov_b32 s57, 0x100                                       // 000000003554: BEB900FF 00000100
	s_mov_b32 s58, 0x1000                                      // 00000000355C: BEBA00FF 00001000
	s_mov_b32 s79, 0x400                                       // 000000003564: BECF00FF 00000400
	s_mov_b32 s59, 0x200                                       // 00000000356C: BEBB00FF 00000200
	s_mov_b32 s90, s58                                         // 000000003574: BEDA003A
	s_mov_b32 s52, 0x7060302                                   // 000000003578: BEB400FF 07060302
	s_mov_b32 s53, 0x400                                       // 000000003580: BEB500FF 00000400
	s_mov_b32 s54, 0x40100                                     // 000000003588: BEB600FF 00040100
	s_mov_b32 s55, 0x4020100                                   // 000000003590: BEB700FF 04020100
	s_mov_b32 s6, 0x3fb8aa3b                                   // 000000003598: BE8600FF 3FB8AA3B
	s_mov_b32 s77, 0xbd92220c                                  // 0000000035A0: BECD00FF BD92220C
	s_mov_b32 m0, s50                                          // 0000000035A8: BEFC0032
	v_mov_b32_e32 v1, 0xbfcc4231                               // 0000000035AC: 7E0202FF BFCC4231
	v_mov_b32_e32 v39, 0xffff0000                              // 0000000035B4: 7E4E02FF FFFF0000
	v_mov_b32_e32 v40, 0x7fff0000                              // 0000000035BC: 7E5002FF 7FFF0000
	v_mov_b32_e32 v41, 0x7fff                                  // 0000000035C4: 7E5202FF 00007FFF
	s_waitcnt vmcnt(0) expcnt(0) lgkmcnt(0)                    // 0000000035CC: BF8C0000
	v_lshrrev_b32_e32 v44, 24, v6                              // 0000000035D0: 20580C98
	v_mul_i32_i24_e32 v44, s66, v44                            // 0000000035D4: 0C585842
	v_and_b32_e32 v45, 0xffffff, v6                            // 0000000035D8: 265A0CFF 00FFFFFF
	v_add_u32_e32 v6, v44, v45                                 // 0000000035E0: 680C5B2C
	v_lshrrev_b32_e32 v44, 24, v7                              // 0000000035E4: 20580E98
	v_mul_i32_i24_e32 v44, s66, v44                            // 0000000035E8: 0C585842
	v_and_b32_e32 v45, 0xffffff, v7                            // 0000000035EC: 265A0EFF 00FFFFFF
	v_add_u32_e32 v7, v44, v45                                 // 0000000035F4: 680E5B2C
	v_lshlrev_b32_e32 v6, 2, v6                                // 0000000035F8: 240C0C82
	v_lshlrev_b32_e32 v7, 2, v7                                // 0000000035FC: 240E0E82
	buffer_load_dword v13, v6, s[28:31], 0 offen               // 000000003600: E0501000 80070D06
	buffer_load_dword v14, v7, s[28:31], 0 offen               // 000000003608: E0501000 80070E07
	buffer_load_dword v15, v10, s[32:35], 0 offen              // 000000003610: E0501000 80080F0A
	buffer_load_dword v16, v11, s[32:35], 0 offen              // 000000003618: E0501000 8008100B
	s_mul_i32 s60, 4, s65                                      // 000000003620: 923C4184
	s_add_u32 s32, s60, s32                                    // 000000003624: 8020203C
	s_addc_u32 s33, 0, s33                                     // 000000003628: 82212180
	buffer_load_dword v42, v10, s[32:35], 0 offen              // 00000000362C: E0501000 80082A0A
	buffer_load_dword v43, v11, s[32:35], 0 offen              // 000000003634: E0501000 80082B0B
	buffer_load_dword v16, v10, s[36:39], 0 offen              // 00000000363C: E0501000 8009100A
	buffer_load_dword v17, v11, s[36:39], 0 offen              // 000000003644: E0501000 8009110B
	buffer_load_dword v17, v8, s[40:43], 0 offen               // 00000000364C: E0501000 800A1108
	buffer_load_dword v18, v9, s[40:43], 0 offen               // 000000003654: E0501000 800A1209
	buffer_load_dword v24, s[20:23], 0 offen lds               // 00000000365C: E0511000 80050018
	s_add_u32 m0, 0x100, s50                                   // 000000003664: 807C32FF 00000100
	buffer_load_dword v25, s[20:23], 0 offen lds               // 00000000366C: E0511000 80050019
	s_add_u32 m0, 0x200, s50                                   // 000000003674: 807C32FF 00000200
	buffer_load_dword v26, s[20:23], 0 offen lds               // 00000000367C: E0511000 8005001A
	s_add_u32 m0, 0x300, s50                                   // 000000003684: 807C32FF 00000300
	buffer_load_dword v27, s[20:23], 0 offen lds               // 00000000368C: E0511000 8005001B
	s_add_u32 m0, 0x400, s50                                   // 000000003694: 807C32FF 00000400
	buffer_load_dword v28, s[20:23], 0 offen lds               // 00000000369C: E0511000 8005001C
	s_add_u32 m0, 0x500, s50                                   // 0000000036A4: 807C32FF 00000500
	buffer_load_dword v29, s[20:23], 0 offen lds               // 0000000036AC: E0511000 8005001D
	s_add_u32 m0, 0x600, s50                                   // 0000000036B4: 807C32FF 00000600
	buffer_load_dword v30, s[20:23], 0 offen lds               // 0000000036BC: E0511000 8005001E
	s_add_u32 m0, 0x700, s50                                   // 0000000036C4: 807C32FF 00000700
	buffer_load_dword v31, s[20:23], 0 offen lds               // 0000000036CC: E0511000 8005001F
	s_add_u32 m0, 0, s51                                       // 0000000036D4: 807C3380
	s_add_u32 s20, s57, s20                                    // 0000000036D8: 80141439
	s_addc_u32 s21, 0, s21                                     // 0000000036DC: 82151580
	buffer_load_dwordx4 a[0:3], v32, s[24:27], 0 offen         // 0000000036E0: E05C1000 80860020
	buffer_load_dwordx4 a[4:7], v32, s[24:27], 0 offen offset:1024// 0000000036E8: E05C1400 80860420
	buffer_load_dwordx4 a[8:11], v32, s[24:27], 0 offen offset:2048// 0000000036F0: E05C1800 80860820
	buffer_load_dwordx4 a[12:15], v32, s[24:27], 0 offen offset:3072// 0000000036F8: E05C1C00 80860C20
	buffer_load_dwordx4 a[16:19], v33, s[24:27], 0 offen       // 000000003700: E05C1000 80861021
	buffer_load_dwordx4 a[20:23], v33, s[24:27], 0 offen offset:1024// 000000003708: E05C1400 80861421
	buffer_load_dwordx4 a[24:27], v33, s[24:27], 0 offen offset:2048// 000000003710: E05C1800 80861821
	buffer_load_dwordx4 a[28:31], v33, s[24:27], 0 offen offset:3072// 000000003718: E05C1C00 80861C21
	s_add_u32 s24, s58, s24                                    // 000000003720: 8018183A
	s_addc_u32 s25, 0, s25                                     // 000000003724: 82191980
	v_mov_b32_e32 v128, 0                                      // 000000003728: 7F000280
	v_mov_b32_e32 v64, 0                                       // 00000000372C: 7E800280
	v_mov_b32_e32 v129, 0                                      // 000000003730: 7F020280
	v_mov_b32_e32 v65, 0                                       // 000000003734: 7E820280
	v_mov_b32_e32 v130, 0                                      // 000000003738: 7F040280
	v_mov_b32_e32 v66, 0                                       // 00000000373C: 7E840280
	v_mov_b32_e32 v131, 0                                      // 000000003740: 7F060280
	v_mov_b32_e32 v67, 0                                       // 000000003744: 7E860280
	v_mov_b32_e32 v132, 0                                      // 000000003748: 7F080280
	v_mov_b32_e32 v68, 0                                       // 00000000374C: 7E880280
	v_mov_b32_e32 v133, 0                                      // 000000003750: 7F0A0280
	v_mov_b32_e32 v69, 0                                       // 000000003754: 7E8A0280
	v_mov_b32_e32 v134, 0                                      // 000000003758: 7F0C0280
	v_mov_b32_e32 v70, 0                                       // 00000000375C: 7E8C0280
	v_mov_b32_e32 v135, 0                                      // 000000003760: 7F0E0280
	v_mov_b32_e32 v71, 0                                       // 000000003764: 7E8E0280
	v_mov_b32_e32 v136, 0                                      // 000000003768: 7F100280
	v_mov_b32_e32 v72, 0                                       // 00000000376C: 7E900280
	v_mov_b32_e32 v137, 0                                      // 000000003770: 7F120280
	v_mov_b32_e32 v73, 0                                       // 000000003774: 7E920280
	v_mov_b32_e32 v138, 0                                      // 000000003778: 7F140280
	v_mov_b32_e32 v74, 0                                       // 00000000377C: 7E940280
	v_mov_b32_e32 v139, 0                                      // 000000003780: 7F160280
	v_mov_b32_e32 v75, 0                                       // 000000003784: 7E960280
	v_mov_b32_e32 v140, 0                                      // 000000003788: 7F180280
	v_mov_b32_e32 v76, 0                                       // 00000000378C: 7E980280
	v_mov_b32_e32 v141, 0                                      // 000000003790: 7F1A0280
	v_mov_b32_e32 v77, 0                                       // 000000003794: 7E9A0280
	v_mov_b32_e32 v142, 0                                      // 000000003798: 7F1C0280
	v_mov_b32_e32 v78, 0                                       // 00000000379C: 7E9C0280
	v_mov_b32_e32 v143, 0                                      // 0000000037A0: 7F1E0280
	v_mov_b32_e32 v79, 0                                       // 0000000037A4: 7E9E0280
	v_lshrrev_b32_e32 v44, 4, v0                               // 0000000037A8: 20580084
	v_mul_i32_i24_e32 v3, 34, v44                              // 0000000037AC: 0C0658A2
	v_and_b32_e32 v44, 15, v0                                  // 0000000037B0: 2658008F
	v_mul_i32_i24_e32 v45, 2, v44                              // 0000000037B4: 0C5A5882
	v_add_u32_e32 v3, v45, v3                                  // 0000000037B8: 6806072D
	s_mul_i32 s60, s7, 0x88                                    // 0000000037BC: 923CFF07 00000088
	v_add_u32_e32 v3, s60, v3                                  // 0000000037C4: 6806063C
	v_lshlrev_b32_e32 v3, 2, v3                                // 0000000037C8: 24060682
	v_lshrrev_b32_e32 v44, 1, v0                               // 0000000037CC: 20580081
	v_mul_i32_i24_e32 v4, 34, v44                              // 0000000037D0: 0C0858A2
	v_and_b32_e32 v45, 1, v0                                   // 0000000037D4: 265A0081
	v_add_u32_e32 v4, v45, v4                                  // 0000000037D8: 6808092D
	s_mul_i32 s60, s7, 2                                       // 0000000037DC: 923C8207
	v_add_u32_e32 v4, s60, v4                                  // 0000000037E0: 6808083C
	v_lshlrev_b32_e32 v4, 2, v4                                // 0000000037E4: 24080882
	s_waitcnt vmcnt(8)                                         // 0000000037E8: BF8C0F78
	s_barrier                                                  // 0000000037EC: BF8A0000
	ds_read_b128 v[144:147], v2                                // 0000000037F0: D9FE0000 90000002
	ds_read_b128 v[148:151], v2 offset:64                      // 0000000037F8: D9FE0040 94000002
	ds_read_b128 v[152:155], v2 offset:128                     // 000000003800: D9FE0080 98000002
	ds_read_b128 v[156:159], v2 offset:192                     // 000000003808: D9FE00C0 9C000002
	ds_read_b128 v[160:163], v2 offset:1024                    // 000000003810: D9FE0400 A0000002
	ds_read_b128 v[164:167], v2 offset:1088                    // 000000003818: D9FE0440 A4000002
	ds_read_b128 v[168:171], v2 offset:1152                    // 000000003820: D9FE0480 A8000002
	ds_read_b128 v[172:175], v2 offset:1216                    // 000000003828: D9FE04C0 AC000002
	s_cmp_lt_i32 s7, 2                                         // 000000003830: BF048207
	s_cbranch_scc0 label_0B49                                  // 000000003834: BF8408BB

0000000000003838 <label_028E>:
	s_waitcnt vmcnt(0) lgkmcnt(0)                              // 000000003838: BF8C0070
	s_barrier                                                  // 00000000383C: BF8A0000
	v_mfma_i32_16x16x32_i8 v[128:131], a[0:1], v[144:145], v[128:131]// 000000003840: D3D70080 0E032100
	v_mfma_i32_16x16x32_i8 v[128:131], a[2:3], v[146:147], v[128:131]// 000000003848: D3D70080 0E032502
	buffer_load_dwordx4 a[32:35], v32, s[92:95], 0 offen       // 000000003850: E05C1000 80972020
	v_mfma_i32_16x16x32_i8 v[128:131], a[4:5], v[148:149], v[128:131]// 000000003858: D3D70080 0E032904
	v_mfma_i32_16x16x32_i8 v[128:131], a[6:7], v[150:151], v[128:131]// 000000003860: D3D70080 0E032D06
	buffer_load_dword v24, s[20:23], 0 offen lds               // 000000003868: E0511000 80050018
	s_add_u32 m0, 0x100, s51                                   // 000000003870: 807C33FF 00000100
	v_mfma_i32_16x16x32_i8 v[128:131], a[8:9], v[152:153], v[128:131]// 000000003878: D3D70080 0E033108
	v_mfma_i32_16x16x32_i8 v[128:131], a[10:11], v[154:155], v[128:131]// 000000003880: D3D70080 0E03350A
	buffer_load_dwordx4 a[36:39], v32, s[92:95], 0 offen offset:1024// 000000003888: E05C1400 80972420
	v_mfma_i32_16x16x32_i8 v[128:131], a[12:13], v[156:157], v[128:131]// 000000003890: D3D70080 0E03390C
	v_mfma_i32_16x16x32_i8 v[128:131], a[14:15], v[158:159], v[128:131]// 000000003898: D3D70080 0E033D0E
	buffer_load_dword v25, s[20:23], 0 offen lds               // 0000000038A0: E0511000 80050019
	s_add_u32 m0, 0x200, s51                                   // 0000000038A8: 807C33FF 00000200
	v_mfma_i32_16x16x32_i8 v[132:135], a[0:1], v[160:161], v[132:135]// 0000000038B0: D3D70084 0E134100
	v_mfma_i32_16x16x32_i8 v[132:135], a[2:3], v[162:163], v[132:135]// 0000000038B8: D3D70084 0E134502
	buffer_load_dwordx4 a[40:43], v32, s[92:95], 0 offen offset:2048// 0000000038C0: E05C1800 80972820
	v_mfma_i32_16x16x32_i8 v[132:135], a[4:5], v[164:165], v[132:135]// 0000000038C8: D3D70084 0E134904
	v_mfma_i32_16x16x32_i8 v[132:135], a[6:7], v[166:167], v[132:135]// 0000000038D0: D3D70084 0E134D06
	buffer_load_dword v26, s[20:23], 0 offen lds               // 0000000038D8: E0511000 8005001A
	s_add_u32 m0, 0x300, s51                                   // 0000000038E0: 807C33FF 00000300
	v_mfma_i32_16x16x32_i8 v[132:135], a[8:9], v[168:169], v[132:135]// 0000000038E8: D3D70084 0E135108
	v_mfma_i32_16x16x32_i8 v[132:135], a[10:11], v[170:171], v[132:135]// 0000000038F0: D3D70084 0E13550A
	buffer_load_dwordx4 a[44:47], v32, s[92:95], 0 offen offset:3072// 0000000038F8: E05C1C00 80972C20
	v_mfma_i32_16x16x32_i8 v[132:135], a[12:13], v[172:173], v[132:135]// 000000003900: D3D70084 0E13590C
	v_mfma_i32_16x16x32_i8 v[132:135], a[14:15], v[174:175], v[132:135]// 000000003908: D3D70084 0E135D0E
	buffer_load_dword v27, s[20:23], 0 offen lds               // 000000003910: E0511000 8005001B
	s_add_u32 m0, 0x400, s51                                   // 000000003918: 807C33FF 00000400
	v_mfma_i32_16x16x32_i8 v[136:139], a[16:17], v[144:145], v[136:139]// 000000003920: D3D70088 0E232110
	v_mfma_i32_16x16x32_i8 v[136:139], a[18:19], v[146:147], v[136:139]// 000000003928: D3D70088 0E232512
	buffer_load_dwordx4 a[48:51], v33, s[92:95], 0 offen       // 000000003930: E05C1000 80973021
	v_mfma_i32_16x16x32_i8 v[136:139], a[20:21], v[148:149], v[136:139]// 000000003938: D3D70088 0E232914
	v_mfma_i32_16x16x32_i8 v[136:139], a[22:23], v[150:151], v[136:139]// 000000003940: D3D70088 0E232D16
	buffer_load_dword v28, s[20:23], 0 offen lds               // 000000003948: E0511000 8005001C
	s_add_u32 m0, 0x500, s51                                   // 000000003950: 807C33FF 00000500
	v_mfma_i32_16x16x32_i8 v[136:139], a[24:25], v[152:153], v[136:139]// 000000003958: D3D70088 0E233118
	v_mfma_i32_16x16x32_i8 v[136:139], a[26:27], v[154:155], v[136:139]// 000000003960: D3D70088 0E23351A
	buffer_load_dwordx4 a[52:55], v33, s[92:95], 0 offen offset:1024// 000000003968: E05C1400 80973421
	v_mfma_i32_16x16x32_i8 v[136:139], a[28:29], v[156:157], v[136:139]// 000000003970: D3D70088 0E23391C
	v_mfma_i32_16x16x32_i8 v[136:139], a[30:31], v[158:159], v[136:139]// 000000003978: D3D70088 0E233D1E
	buffer_load_dword v29, s[20:23], 0 offen lds               // 000000003980: E0511000 8005001D
	s_add_u32 m0, 0x600, s51                                   // 000000003988: 807C33FF 00000600
	v_mfma_i32_16x16x32_i8 v[140:143], a[16:17], v[160:161], v[140:143]// 000000003990: D3D7008C 0E334110
	v_mfma_i32_16x16x32_i8 v[140:143], a[18:19], v[162:163], v[140:143]// 000000003998: D3D7008C 0E334512
	buffer_load_dwordx4 a[56:59], v33, s[92:95], 0 offen offset:2048// 0000000039A0: E05C1800 80973821
	v_mfma_i32_16x16x32_i8 v[140:143], a[20:21], v[164:165], v[140:143]// 0000000039A8: D3D7008C 0E334914
	v_mfma_i32_16x16x32_i8 v[140:143], a[22:23], v[166:167], v[140:143]// 0000000039B0: D3D7008C 0E334D16
	buffer_load_dword v30, s[20:23], 0 offen lds               // 0000000039B8: E0511000 8005001E
	s_add_u32 m0, 0x700, s51                                   // 0000000039C0: 807C33FF 00000700
	v_mfma_i32_16x16x32_i8 v[140:143], a[24:25], v[168:169], v[140:143]// 0000000039C8: D3D7008C 0E335118
	v_mfma_i32_16x16x32_i8 v[140:143], a[26:27], v[170:171], v[140:143]// 0000000039D0: D3D7008C 0E33551A
	buffer_load_dwordx4 a[60:63], v33, s[92:95], 0 offen offset:3072// 0000000039D8: E05C1C00 80973C21
	v_mfma_i32_16x16x32_i8 v[140:143], a[28:29], v[172:173], v[140:143]// 0000000039E0: D3D7008C 0E33591C
	v_mfma_i32_16x16x32_i8 v[140:143], a[30:31], v[174:175], v[140:143]// 0000000039E8: D3D7008C 0E335D1E
	buffer_load_dword v31, s[20:23], 0 offen lds               // 0000000039F0: E0511000 8005001F
	s_add_u32 m0, 0, s50                                       // 0000000039F8: 807C3280
	s_waitcnt vmcnt(0)                                         // 0000000039FC: BF8C0F70
	s_barrier                                                  // 000000003A00: BF8A0000
	v_mfma_i32_16x16x32_i8 v[64:67], a[32:33], v[144:145], v[64:67]// 000000003A04: D3D70040 0D032120
	v_mfma_i32_16x16x32_i8 v[64:67], a[34:35], v[146:147], v[64:67]// 000000003A0C: D3D70040 0D032522
	buffer_load_dwordx4 a[0:3], v32, s[24:27], 0 offen         // 000000003A14: E05C1000 80860020
	v_mfma_i32_16x16x32_i8 v[64:67], a[36:37], v[148:149], v[64:67]// 000000003A1C: D3D70040 0D032924
	v_mfma_i32_16x16x32_i8 v[64:67], a[38:39], v[150:151], v[64:67]// 000000003A24: D3D70040 0D032D26
	ds_read_b128 v[176:179], v2 offset:8320                    // 000000003A2C: D9FE2080 B0000002
	v_mfma_i32_16x16x32_i8 v[64:67], a[40:41], v[152:153], v[64:67]// 000000003A34: D3D70040 0D033128
	v_mfma_i32_16x16x32_i8 v[64:67], a[42:43], v[154:155], v[64:67]// 000000003A3C: D3D70040 0D03352A
	buffer_load_dwordx4 a[4:7], v32, s[24:27], 0 offen offset:1024// 000000003A44: E05C1400 80860420
	v_mfma_i32_16x16x32_i8 v[64:67], a[44:45], v[156:157], v[64:67]// 000000003A4C: D3D70040 0D03392C
	v_mfma_i32_16x16x32_i8 v[64:67], a[46:47], v[158:159], v[64:67]// 000000003A54: D3D70040 0D033D2E
	ds_read_b128 v[180:183], v2 offset:8384                    // 000000003A5C: D9FE20C0 B4000002
	v_mfma_i32_16x16x32_i8 v[68:71], a[32:33], v[160:161], v[68:71]// 000000003A64: D3D70044 0D134120
	v_mfma_i32_16x16x32_i8 v[68:71], a[34:35], v[162:163], v[68:71]// 000000003A6C: D3D70044 0D134522
	buffer_load_dwordx4 a[8:11], v32, s[24:27], 0 offen offset:2048// 000000003A74: E05C1800 80860820
	v_mfma_i32_16x16x32_i8 v[68:71], a[36:37], v[164:165], v[68:71]// 000000003A7C: D3D70044 0D134924
	v_mfma_i32_16x16x32_i8 v[68:71], a[38:39], v[166:167], v[68:71]// 000000003A84: D3D70044 0D134D26
	ds_read_b128 v[184:187], v2 offset:8448                    // 000000003A8C: D9FE2100 B8000002
	v_mfma_i32_16x16x32_i8 v[68:71], a[40:41], v[168:169], v[68:71]// 000000003A94: D3D70044 0D135128
	v_mfma_i32_16x16x32_i8 v[68:71], a[42:43], v[170:171], v[68:71]// 000000003A9C: D3D70044 0D13552A
	buffer_load_dwordx4 a[12:15], v32, s[24:27], 0 offen offset:3072// 000000003AA4: E05C1C00 80860C20
	v_mfma_i32_16x16x32_i8 v[68:71], a[44:45], v[172:173], v[68:71]// 000000003AAC: D3D70044 0D13592C
	v_mfma_i32_16x16x32_i8 v[68:71], a[46:47], v[174:175], v[68:71]// 000000003AB4: D3D70044 0D135D2E
	ds_read_b128 v[188:191], v2 offset:8512                    // 000000003ABC: D9FE2140 BC000002
	v_mfma_i32_16x16x32_i8 v[72:75], a[48:49], v[144:145], v[72:75]// 000000003AC4: D3D70048 0D232130
	v_mfma_i32_16x16x32_i8 v[72:75], a[50:51], v[146:147], v[72:75]// 000000003ACC: D3D70048 0D232532
	buffer_load_dwordx4 a[16:19], v33, s[24:27], 0 offen       // 000000003AD4: E05C1000 80861021
	v_mfma_i32_16x16x32_i8 v[72:75], a[52:53], v[148:149], v[72:75]// 000000003ADC: D3D70048 0D232934
	v_mfma_i32_16x16x32_i8 v[72:75], a[54:55], v[150:151], v[72:75]// 000000003AE4: D3D70048 0D232D36
	ds_read_b128 v[192:195], v2 offset:9344                    // 000000003AEC: D9FE2480 C0000002
	v_mfma_i32_16x16x32_i8 v[72:75], a[56:57], v[152:153], v[72:75]// 000000003AF4: D3D70048 0D233138
	v_mfma_i32_16x16x32_i8 v[72:75], a[58:59], v[154:155], v[72:75]// 000000003AFC: D3D70048 0D23353A
	buffer_load_dwordx4 a[20:23], v33, s[24:27], 0 offen offset:1024// 000000003B04: E05C1400 80861421
	v_mfma_i32_16x16x32_i8 v[72:75], a[60:61], v[156:157], v[72:75]// 000000003B0C: D3D70048 0D23393C
	v_mfma_i32_16x16x32_i8 v[72:75], a[62:63], v[158:159], v[72:75]// 000000003B14: D3D70048 0D233D3E
	ds_read_b128 v[196:199], v2 offset:9408                    // 000000003B1C: D9FE24C0 C4000002
	v_mfma_i32_16x16x32_i8 v[76:79], a[48:49], v[160:161], v[76:79]// 000000003B24: D3D7004C 0D334130
	v_mfma_i32_16x16x32_i8 v[76:79], a[50:51], v[162:163], v[76:79]// 000000003B2C: D3D7004C 0D334532
	buffer_load_dwordx4 a[24:27], v33, s[24:27], 0 offen offset:2048// 000000003B34: E05C1800 80861821
	v_mfma_i32_16x16x32_i8 v[76:79], a[52:53], v[164:165], v[76:79]// 000000003B3C: D3D7004C 0D334934
	v_mfma_i32_16x16x32_i8 v[76:79], a[54:55], v[166:167], v[76:79]// 000000003B44: D3D7004C 0D334D36
	ds_read_b128 v[200:203], v2 offset:9472                    // 000000003B4C: D9FE2500 C8000002
	v_mfma_i32_16x16x32_i8 v[76:79], a[56:57], v[168:169], v[76:79]// 000000003B54: D3D7004C 0D335138
	v_mfma_i32_16x16x32_i8 v[76:79], a[58:59], v[170:171], v[76:79]// 000000003B5C: D3D7004C 0D33553A
	buffer_load_dwordx4 a[28:31], v33, s[24:27], 0 offen offset:3072// 000000003B64: E05C1C00 80861C21
	v_mfma_i32_16x16x32_i8 v[76:79], a[60:61], v[172:173], v[76:79]// 000000003B6C: D3D7004C 0D33593C
	v_mfma_i32_16x16x32_i8 v[76:79], a[62:63], v[174:175], v[76:79]// 000000003B74: D3D7004C 0D335D3E
	ds_read_b128 v[204:207], v2 offset:9536                    // 000000003B7C: D9FE2540 CC000002
	s_add_u32 s60, 0x200, s80                                  // 000000003B84: 803C50FF 00000200
	s_cmp_lt_u32 s60, s81                                      // 000000003B8C: BF0A513C
	s_cselect_b32 s57, s57, 0                                  // 000000003B90: 85398039
	s_add_u32 s60, 0x200, s80                                  // 000000003B94: 803C50FF 00000200
	s_cmp_lt_u32 s60, s81                                      // 000000003B9C: BF0A513C
	s_cselect_b32 s58, s58, 0                                  // 000000003BA0: 853A803A
	s_add_u32 s20, s57, s20                                    // 000000003BA4: 80141439
	s_addc_u32 s21, 0, s21                                     // 000000003BA8: 82151580
	s_add_u32 s24, s58, s24                                    // 000000003BAC: 8018183A
	s_addc_u32 s25, 0, s25                                     // 000000003BB0: 82191980
	s_add_u32 s92, s90, s92                                    // 000000003BB4: 805C5C5A
	s_addc_u32 s93, 0, s93                                     // 000000003BB8: 825D5D80
	s_addk_i32 s80, 0x100                                      // 000000003BBC: B7500100
	s_cmp_lt_i32 s80, s81                                      // 000000003BC0: BF045150
	s_cbranch_scc0 label_0457                                  // 000000003BC4: BF8400E5
	s_waitcnt vmcnt(0) lgkmcnt(0)                              // 000000003BC8: BF8C0070
	s_barrier                                                  // 000000003BCC: BF8A0000
	v_mfma_i32_16x16x32_i8 v[128:131], a[0:1], v[176:177], v[128:131]// 000000003BD0: D3D70080 0E036100
	v_mfma_i32_16x16x32_i8 v[128:131], a[2:3], v[178:179], v[128:131]// 000000003BD8: D3D70080 0E036502
	buffer_load_dwordx4 a[32:35], v32, s[92:95], 0 offen       // 000000003BE0: E05C1000 80972020
	v_mfma_i32_16x16x32_i8 v[128:131], a[4:5], v[180:181], v[128:131]// 000000003BE8: D3D70080 0E036904
	v_mfma_i32_16x16x32_i8 v[128:131], a[6:7], v[182:183], v[128:131]// 000000003BF0: D3D70080 0E036D06
	buffer_load_dword v24, s[20:23], 0 offen lds               // 000000003BF8: E0511000 80050018
	s_add_u32 m0, 0x100, s50                                   // 000000003C00: 807C32FF 00000100
	v_mfma_i32_16x16x32_i8 v[128:131], a[8:9], v[184:185], v[128:131]// 000000003C08: D3D70080 0E037108
	v_mfma_i32_16x16x32_i8 v[128:131], a[10:11], v[186:187], v[128:131]// 000000003C10: D3D70080 0E03750A
	buffer_load_dwordx4 a[36:39], v32, s[92:95], 0 offen offset:1024// 000000003C18: E05C1400 80972420
	v_mfma_i32_16x16x32_i8 v[128:131], a[12:13], v[188:189], v[128:131]// 000000003C20: D3D70080 0E03790C
	v_mfma_i32_16x16x32_i8 v[128:131], a[14:15], v[190:191], v[128:131]// 000000003C28: D3D70080 0E037D0E
	buffer_load_dword v25, s[20:23], 0 offen lds               // 000000003C30: E0511000 80050019
	s_add_u32 m0, 0x200, s50                                   // 000000003C38: 807C32FF 00000200
	v_mfma_i32_16x16x32_i8 v[132:135], a[0:1], v[192:193], v[132:135]// 000000003C40: D3D70084 0E138100
	v_mfma_i32_16x16x32_i8 v[132:135], a[2:3], v[194:195], v[132:135]// 000000003C48: D3D70084 0E138502
	buffer_load_dwordx4 a[40:43], v32, s[92:95], 0 offen offset:2048// 000000003C50: E05C1800 80972820
	v_mfma_i32_16x16x32_i8 v[132:135], a[4:5], v[196:197], v[132:135]// 000000003C58: D3D70084 0E138904
	v_mfma_i32_16x16x32_i8 v[132:135], a[6:7], v[198:199], v[132:135]// 000000003C60: D3D70084 0E138D06
	buffer_load_dword v26, s[20:23], 0 offen lds               // 000000003C68: E0511000 8005001A
	s_add_u32 m0, 0x300, s50                                   // 000000003C70: 807C32FF 00000300
	v_mfma_i32_16x16x32_i8 v[132:135], a[8:9], v[200:201], v[132:135]// 000000003C78: D3D70084 0E139108
	v_mfma_i32_16x16x32_i8 v[132:135], a[10:11], v[202:203], v[132:135]// 000000003C80: D3D70084 0E13950A
	buffer_load_dwordx4 a[44:47], v32, s[92:95], 0 offen offset:3072// 000000003C88: E05C1C00 80972C20
	v_mfma_i32_16x16x32_i8 v[132:135], a[12:13], v[204:205], v[132:135]// 000000003C90: D3D70084 0E13990C
	v_mfma_i32_16x16x32_i8 v[132:135], a[14:15], v[206:207], v[132:135]// 000000003C98: D3D70084 0E139D0E
	buffer_load_dword v27, s[20:23], 0 offen lds               // 000000003CA0: E0511000 8005001B
	s_add_u32 m0, 0x400, s50                                   // 000000003CA8: 807C32FF 00000400
	v_mfma_i32_16x16x32_i8 v[136:139], a[16:17], v[176:177], v[136:139]// 000000003CB0: D3D70088 0E236110
	v_mfma_i32_16x16x32_i8 v[136:139], a[18:19], v[178:179], v[136:139]// 000000003CB8: D3D70088 0E236512
	buffer_load_dwordx4 a[48:51], v33, s[92:95], 0 offen       // 000000003CC0: E05C1000 80973021
	v_mfma_i32_16x16x32_i8 v[136:139], a[20:21], v[180:181], v[136:139]// 000000003CC8: D3D70088 0E236914
	v_mfma_i32_16x16x32_i8 v[136:139], a[22:23], v[182:183], v[136:139]// 000000003CD0: D3D70088 0E236D16
	buffer_load_dword v28, s[20:23], 0 offen lds               // 000000003CD8: E0511000 8005001C
	s_add_u32 m0, 0x500, s50                                   // 000000003CE0: 807C32FF 00000500
	v_mfma_i32_16x16x32_i8 v[136:139], a[24:25], v[184:185], v[136:139]// 000000003CE8: D3D70088 0E237118
	v_mfma_i32_16x16x32_i8 v[136:139], a[26:27], v[186:187], v[136:139]// 000000003CF0: D3D70088 0E23751A
	buffer_load_dwordx4 a[52:55], v33, s[92:95], 0 offen offset:1024// 000000003CF8: E05C1400 80973421
	v_mfma_i32_16x16x32_i8 v[136:139], a[28:29], v[188:189], v[136:139]// 000000003D00: D3D70088 0E23791C
	v_mfma_i32_16x16x32_i8 v[136:139], a[30:31], v[190:191], v[136:139]// 000000003D08: D3D70088 0E237D1E
	buffer_load_dword v29, s[20:23], 0 offen lds               // 000000003D10: E0511000 8005001D
	s_add_u32 m0, 0x600, s50                                   // 000000003D18: 807C32FF 00000600
	v_mfma_i32_16x16x32_i8 v[140:143], a[16:17], v[192:193], v[140:143]// 000000003D20: D3D7008C 0E338110
	v_mfma_i32_16x16x32_i8 v[140:143], a[18:19], v[194:195], v[140:143]// 000000003D28: D3D7008C 0E338512
	buffer_load_dwordx4 a[56:59], v33, s[92:95], 0 offen offset:2048// 000000003D30: E05C1800 80973821
	v_mfma_i32_16x16x32_i8 v[140:143], a[20:21], v[196:197], v[140:143]// 000000003D38: D3D7008C 0E338914
	v_mfma_i32_16x16x32_i8 v[140:143], a[22:23], v[198:199], v[140:143]// 000000003D40: D3D7008C 0E338D16
	buffer_load_dword v30, s[20:23], 0 offen lds               // 000000003D48: E0511000 8005001E
	s_add_u32 m0, 0x700, s50                                   // 000000003D50: 807C32FF 00000700
	v_mfma_i32_16x16x32_i8 v[140:143], a[24:25], v[200:201], v[140:143]// 000000003D58: D3D7008C 0E339118
	v_mfma_i32_16x16x32_i8 v[140:143], a[26:27], v[202:203], v[140:143]// 000000003D60: D3D7008C 0E33951A
	buffer_load_dwordx4 a[60:63], v33, s[92:95], 0 offen offset:3072// 000000003D68: E05C1C00 80973C21
	v_mfma_i32_16x16x32_i8 v[140:143], a[28:29], v[204:205], v[140:143]// 000000003D70: D3D7008C 0E33991C
	v_mfma_i32_16x16x32_i8 v[140:143], a[30:31], v[206:207], v[140:143]// 000000003D78: D3D7008C 0E339D1E
	buffer_load_dword v31, s[20:23], 0 offen lds               // 000000003D80: E0511000 8005001F
	s_add_u32 m0, 0, s51                                       // 000000003D88: 807C3380
	s_waitcnt vmcnt(0)                                         // 000000003D8C: BF8C0F70
	s_barrier                                                  // 000000003D90: BF8A0000
	v_mfma_i32_16x16x32_i8 v[64:67], a[32:33], v[176:177], v[64:67]// 000000003D94: D3D70040 0D036120
	v_mfma_i32_16x16x32_i8 v[64:67], a[34:35], v[178:179], v[64:67]// 000000003D9C: D3D70040 0D036522
	buffer_load_dwordx4 a[0:3], v32, s[24:27], 0 offen         // 000000003DA4: E05C1000 80860020
	v_mfma_i32_16x16x32_i8 v[64:67], a[36:37], v[180:181], v[64:67]// 000000003DAC: D3D70040 0D036924
	v_mfma_i32_16x16x32_i8 v[64:67], a[38:39], v[182:183], v[64:67]// 000000003DB4: D3D70040 0D036D26
	ds_read_b128 v[144:147], v2                                // 000000003DBC: D9FE0000 90000002
	v_mfma_i32_16x16x32_i8 v[64:67], a[40:41], v[184:185], v[64:67]// 000000003DC4: D3D70040 0D037128
	v_mfma_i32_16x16x32_i8 v[64:67], a[42:43], v[186:187], v[64:67]// 000000003DCC: D3D70040 0D03752A
	buffer_load_dwordx4 a[4:7], v32, s[24:27], 0 offen offset:1024// 000000003DD4: E05C1400 80860420
	v_mfma_i32_16x16x32_i8 v[64:67], a[44:45], v[188:189], v[64:67]// 000000003DDC: D3D70040 0D03792C
	v_mfma_i32_16x16x32_i8 v[64:67], a[46:47], v[190:191], v[64:67]// 000000003DE4: D3D70040 0D037D2E
	ds_read_b128 v[148:151], v2 offset:64                      // 000000003DEC: D9FE0040 94000002
	v_mfma_i32_16x16x32_i8 v[68:71], a[32:33], v[192:193], v[68:71]// 000000003DF4: D3D70044 0D138120
	v_mfma_i32_16x16x32_i8 v[68:71], a[34:35], v[194:195], v[68:71]// 000000003DFC: D3D70044 0D138522
	buffer_load_dwordx4 a[8:11], v32, s[24:27], 0 offen offset:2048// 000000003E04: E05C1800 80860820
	v_mfma_i32_16x16x32_i8 v[68:71], a[36:37], v[196:197], v[68:71]// 000000003E0C: D3D70044 0D138924
	v_mfma_i32_16x16x32_i8 v[68:71], a[38:39], v[198:199], v[68:71]// 000000003E14: D3D70044 0D138D26
	ds_read_b128 v[152:155], v2 offset:128                     // 000000003E1C: D9FE0080 98000002
	v_mfma_i32_16x16x32_i8 v[68:71], a[40:41], v[200:201], v[68:71]// 000000003E24: D3D70044 0D139128
	v_mfma_i32_16x16x32_i8 v[68:71], a[42:43], v[202:203], v[68:71]// 000000003E2C: D3D70044 0D13952A
	buffer_load_dwordx4 a[12:15], v32, s[24:27], 0 offen offset:3072// 000000003E34: E05C1C00 80860C20
	v_mfma_i32_16x16x32_i8 v[68:71], a[44:45], v[204:205], v[68:71]// 000000003E3C: D3D70044 0D13992C
	v_mfma_i32_16x16x32_i8 v[68:71], a[46:47], v[206:207], v[68:71]// 000000003E44: D3D70044 0D139D2E
	ds_read_b128 v[156:159], v2 offset:192                     // 000000003E4C: D9FE00C0 9C000002
	v_mfma_i32_16x16x32_i8 v[72:75], a[48:49], v[176:177], v[72:75]// 000000003E54: D3D70048 0D236130
	v_mfma_i32_16x16x32_i8 v[72:75], a[50:51], v[178:179], v[72:75]// 000000003E5C: D3D70048 0D236532
	buffer_load_dwordx4 a[16:19], v33, s[24:27], 0 offen       // 000000003E64: E05C1000 80861021
	v_mfma_i32_16x16x32_i8 v[72:75], a[52:53], v[180:181], v[72:75]// 000000003E6C: D3D70048 0D236934
	v_mfma_i32_16x16x32_i8 v[72:75], a[54:55], v[182:183], v[72:75]// 000000003E74: D3D70048 0D236D36
	ds_read_b128 v[160:163], v2 offset:1024                    // 000000003E7C: D9FE0400 A0000002
	v_mfma_i32_16x16x32_i8 v[72:75], a[56:57], v[184:185], v[72:75]// 000000003E84: D3D70048 0D237138
	v_mfma_i32_16x16x32_i8 v[72:75], a[58:59], v[186:187], v[72:75]// 000000003E8C: D3D70048 0D23753A
	buffer_load_dwordx4 a[20:23], v33, s[24:27], 0 offen offset:1024// 000000003E94: E05C1400 80861421
	v_mfma_i32_16x16x32_i8 v[72:75], a[60:61], v[188:189], v[72:75]// 000000003E9C: D3D70048 0D23793C
	v_mfma_i32_16x16x32_i8 v[72:75], a[62:63], v[190:191], v[72:75]// 000000003EA4: D3D70048 0D237D3E
	ds_read_b128 v[164:167], v2 offset:1088                    // 000000003EAC: D9FE0440 A4000002
	v_mfma_i32_16x16x32_i8 v[76:79], a[48:49], v[192:193], v[76:79]// 000000003EB4: D3D7004C 0D338130
	v_mfma_i32_16x16x32_i8 v[76:79], a[50:51], v[194:195], v[76:79]// 000000003EBC: D3D7004C 0D338532
	buffer_load_dwordx4 a[24:27], v33, s[24:27], 0 offen offset:2048// 000000003EC4: E05C1800 80861821
	v_mfma_i32_16x16x32_i8 v[76:79], a[52:53], v[196:197], v[76:79]// 000000003ECC: D3D7004C 0D338934
	v_mfma_i32_16x16x32_i8 v[76:79], a[54:55], v[198:199], v[76:79]// 000000003ED4: D3D7004C 0D338D36
	ds_read_b128 v[168:171], v2 offset:1152                    // 000000003EDC: D9FE0480 A8000002
	v_mfma_i32_16x16x32_i8 v[76:79], a[56:57], v[200:201], v[76:79]// 000000003EE4: D3D7004C 0D339138
	v_mfma_i32_16x16x32_i8 v[76:79], a[58:59], v[202:203], v[76:79]// 000000003EEC: D3D7004C 0D33953A
	buffer_load_dwordx4 a[28:31], v33, s[24:27], 0 offen offset:3072// 000000003EF4: E05C1C00 80861C21
	v_mfma_i32_16x16x32_i8 v[76:79], a[60:61], v[204:205], v[76:79]// 000000003EFC: D3D7004C 0D33993C
	v_mfma_i32_16x16x32_i8 v[76:79], a[62:63], v[206:207], v[76:79]// 000000003F04: D3D7004C 0D339D3E
	ds_read_b128 v[172:175], v2 offset:1216                    // 000000003F0C: D9FE04C0 AC000002
	s_add_u32 s60, 0x200, s80                                  // 000000003F14: 803C50FF 00000200
	s_cmp_lt_u32 s60, s81                                      // 000000003F1C: BF0A513C
	s_cselect_b32 s57, s57, 0                                  // 000000003F20: 85398039
	s_add_u32 s60, 0x200, s80                                  // 000000003F24: 803C50FF 00000200
	s_cmp_lt_u32 s60, s81                                      // 000000003F2C: BF0A513C
	s_cselect_b32 s58, s58, 0                                  // 000000003F30: 853A803A
	s_add_u32 s20, s57, s20                                    // 000000003F34: 80141439
	s_addc_u32 s21, 0, s21                                     // 000000003F38: 82151580
	s_add_u32 s24, s58, s24                                    // 000000003F3C: 8018183A
	s_addc_u32 s25, 0, s25                                     // 000000003F40: 82191980
	s_add_u32 s92, s90, s92                                    // 000000003F44: 805C5C5A
	s_addc_u32 s93, 0, s93                                     // 000000003F48: 825D5D80
	s_addk_i32 s80, 0x100                                      // 000000003F4C: B7500100
	s_cmp_lt_i32 s80, s81                                      // 000000003F50: BF045150
	s_cbranch_scc0 label_0457                                  // 000000003F54: BF840001
	s_branch label_028E                                        // 000000003F58: BF82FE37

0000000000003f5c <label_0457>:
	s_mov_b32 s36, -1                                          // 000000003F5C: BEA400C1
	s_mov_b32 s37, -1                                          // 000000003F60: BEA500C1
	s_mov_b64 s[60:61], 0                                      // 000000003F64: BEBC0180
	s_cmp_lt_u32 s82, s66                                      // 000000003F68: BF0A4252
	s_cselect_b64 s[20:21], s[36:37], s[60:61]                 // 000000003F6C: 85943C24
	s_cmp_lt_u32 s83, s66                                      // 000000003F70: BF0A4253
	s_cselect_b64 s[22:23], s[36:37], s[60:61]                 // 000000003F74: 85963C24
	s_cmp_lt_u32 s84, s66                                      // 000000003F78: BF0A4254
	s_cselect_b64 s[24:25], s[36:37], s[60:61]                 // 000000003F7C: 85983C24
	s_cmp_lt_u32 s85, s66                                      // 000000003F80: BF0A4255
	s_cselect_b64 s[26:27], s[36:37], s[60:61]                 // 000000003F84: 859A3C24
	s_cmp_lt_u32 s86, s66                                      // 000000003F88: BF0A4256
	s_cselect_b64 s[28:29], s[36:37], s[60:61]                 // 000000003F8C: 859C3C24
	s_cmp_lt_u32 s87, s66                                      // 000000003F90: BF0A4257
	s_cselect_b64 s[30:31], s[36:37], s[60:61]                 // 000000003F94: 859E3C24
	s_cmp_lt_u32 s88, s66                                      // 000000003F98: BF0A4258
	s_cselect_b64 s[32:33], s[36:37], s[60:61]                 // 000000003F9C: 85A03C24
	s_cmp_lt_u32 s89, s66                                      // 000000003FA0: BF0A4259
	s_cselect_b64 s[34:35], s[36:37], s[60:61]                 // 000000003FA4: 85A23C24
	v_cvt_f32_i32_e32 v128, v128                               // 000000003FA8: 7F000B80
	v_cvt_f32_i32_e32 v129, v129                               // 000000003FAC: 7F020B81
	v_cvt_f32_i32_e32 v130, v130                               // 000000003FB0: 7F040B82
	v_cvt_f32_i32_e32 v131, v131                               // 000000003FB4: 7F060B83
	v_mul_f32_e32 v128, v13, v128                              // 000000003FB8: 0B01010D
	v_mul_f32_e32 v129, v13, v129                              // 000000003FBC: 0B03030D
	v_mul_f32_e32 v130, v13, v130                              // 000000003FC0: 0B05050D
	v_mul_f32_e32 v131, v13, v131                              // 000000003FC4: 0B07070D
	v_mul_f32_dpp v128, v15, v128 row_newbcast:0 row_mask:0xf bank_mask:0xf// 000000003FC8: 0B0100FA FF01500F
	v_mul_f32_dpp v129, v15, v129 row_newbcast:1 row_mask:0xf bank_mask:0xf// 000000003FD0: 0B0302FA FF01510F
	v_mul_f32_dpp v130, v15, v130 row_newbcast:2 row_mask:0xf bank_mask:0xf// 000000003FD8: 0B0504FA FF01520F
	v_mul_f32_dpp v131, v15, v131 row_newbcast:3 row_mask:0xf bank_mask:0xf// 000000003FE0: 0B0706FA FF01530F
	v_cvt_f32_i32_e32 v132, v132                               // 000000003FE8: 7F080B84
	v_cvt_f32_i32_e32 v133, v133                               // 000000003FEC: 7F0A0B85
	v_cvt_f32_i32_e32 v134, v134                               // 000000003FF0: 7F0C0B86
	v_cvt_f32_i32_e32 v135, v135                               // 000000003FF4: 7F0E0B87
	v_mul_f32_e32 v132, v14, v132                              // 000000003FF8: 0B09090E
	v_mul_f32_e32 v133, v14, v133                              // 000000003FFC: 0B0B0B0E
	v_mul_f32_e32 v134, v14, v134                              // 000000004000: 0B0D0D0E
	v_mul_f32_e32 v135, v14, v135                              // 000000004004: 0B0F0F0E
	v_mul_f32_dpp v132, v15, v132 row_newbcast:0 row_mask:0xf bank_mask:0xf// 000000004008: 0B0908FA FF01500F
	v_mul_f32_dpp v133, v15, v133 row_newbcast:1 row_mask:0xf bank_mask:0xf// 000000004010: 0B0B0AFA FF01510F
	v_mul_f32_dpp v134, v15, v134 row_newbcast:2 row_mask:0xf bank_mask:0xf// 000000004018: 0B0D0CFA FF01520F
	v_mul_f32_dpp v135, v15, v135 row_newbcast:3 row_mask:0xf bank_mask:0xf// 000000004020: 0B0F0EFA FF01530F
	v_cvt_f32_i32_e32 v136, v136                               // 000000004028: 7F100B88
	v_cvt_f32_i32_e32 v137, v137                               // 00000000402C: 7F120B89
	v_cvt_f32_i32_e32 v138, v138                               // 000000004030: 7F140B8A
	v_cvt_f32_i32_e32 v139, v139                               // 000000004034: 7F160B8B
	v_mul_f32_e32 v136, v13, v136                              // 000000004038: 0B11110D
	v_mul_f32_e32 v137, v13, v137                              // 00000000403C: 0B13130D
	v_mul_f32_e32 v138, v13, v138                              // 000000004040: 0B15150D
	v_mul_f32_e32 v139, v13, v139                              // 000000004044: 0B17170D
	v_mul_f32_dpp v136, v15, v136 row_newbcast:4 row_mask:0xf bank_mask:0xf// 000000004048: 0B1110FA FF01540F
	v_mul_f32_dpp v137, v15, v137 row_newbcast:5 row_mask:0xf bank_mask:0xf// 000000004050: 0B1312FA FF01550F
	v_mul_f32_dpp v138, v15, v138 row_newbcast:6 row_mask:0xf bank_mask:0xf// 000000004058: 0B1514FA FF01560F
	v_mul_f32_dpp v139, v15, v139 row_newbcast:7 row_mask:0xf bank_mask:0xf// 000000004060: 0B1716FA FF01570F
	v_cvt_f32_i32_e32 v140, v140                               // 000000004068: 7F180B8C
	v_cvt_f32_i32_e32 v141, v141                               // 00000000406C: 7F1A0B8D
	v_cvt_f32_i32_e32 v142, v142                               // 000000004070: 7F1C0B8E
	v_cvt_f32_i32_e32 v143, v143                               // 000000004074: 7F1E0B8F
	v_mul_f32_e32 v140, v14, v140                              // 000000004078: 0B19190E
	v_mul_f32_e32 v141, v14, v141                              // 00000000407C: 0B1B1B0E
	v_mul_f32_e32 v142, v14, v142                              // 000000004080: 0B1D1D0E
	v_mul_f32_e32 v143, v14, v143                              // 000000004084: 0B1F1F0E
	v_mul_f32_dpp v140, v15, v140 row_newbcast:4 row_mask:0xf bank_mask:0xf// 000000004088: 0B1918FA FF01540F
	v_mul_f32_dpp v141, v15, v141 row_newbcast:5 row_mask:0xf bank_mask:0xf// 000000004090: 0B1B1AFA FF01550F
	v_mul_f32_dpp v142, v15, v142 row_newbcast:6 row_mask:0xf bank_mask:0xf// 000000004098: 0B1D1CFA FF01560F
	v_mul_f32_dpp v143, v15, v143 row_newbcast:7 row_mask:0xf bank_mask:0xf// 0000000040A0: 0B1F1EFA FF01570F
	v_cvt_f32_i32_e32 v64, v64                                 // 0000000040A8: 7E800B40
	v_cvt_f32_i32_e32 v65, v65                                 // 0000000040AC: 7E820B41
	v_cvt_f32_i32_e32 v66, v66                                 // 0000000040B0: 7E840B42
	v_cvt_f32_i32_e32 v67, v67                                 // 0000000040B4: 7E860B43
	v_mul_f32_e32 v64, v13, v64                                // 0000000040B8: 0A80810D
	v_mul_f32_e32 v65, v13, v65                                // 0000000040BC: 0A82830D
	v_mul_f32_e32 v66, v13, v66                                // 0000000040C0: 0A84850D
	v_mul_f32_e32 v67, v13, v67                                // 0000000040C4: 0A86870D
	v_mul_f32_dpp v64, v42, v64 row_newbcast:0 row_mask:0xf bank_mask:0xf// 0000000040C8: 0A8080FA FF01502A
	v_mul_f32_dpp v65, v42, v65 row_newbcast:1 row_mask:0xf bank_mask:0xf// 0000000040D0: 0A8282FA FF01512A
	v_mul_f32_dpp v66, v42, v66 row_newbcast:2 row_mask:0xf bank_mask:0xf// 0000000040D8: 0A8484FA FF01522A
	v_mul_f32_dpp v67, v42, v67 row_newbcast:3 row_mask:0xf bank_mask:0xf// 0000000040E0: 0A8686FA FF01532A
	v_cvt_f32_i32_e32 v68, v68                                 // 0000000040E8: 7E880B44
	v_cvt_f32_i32_e32 v69, v69                                 // 0000000040EC: 7E8A0B45
	v_cvt_f32_i32_e32 v70, v70                                 // 0000000040F0: 7E8C0B46
	v_cvt_f32_i32_e32 v71, v71                                 // 0000000040F4: 7E8E0B47
	v_mul_f32_e32 v68, v14, v68                                // 0000000040F8: 0A88890E
	v_mul_f32_e32 v69, v14, v69                                // 0000000040FC: 0A8A8B0E
	v_mul_f32_e32 v70, v14, v70                                // 000000004100: 0A8C8D0E
	v_mul_f32_e32 v71, v14, v71                                // 000000004104: 0A8E8F0E
	v_mul_f32_dpp v68, v42, v68 row_newbcast:0 row_mask:0xf bank_mask:0xf// 000000004108: 0A8888FA FF01502A
	v_mul_f32_dpp v69, v42, v69 row_newbcast:1 row_mask:0xf bank_mask:0xf// 000000004110: 0A8A8AFA FF01512A
	v_mul_f32_dpp v70, v42, v70 row_newbcast:2 row_mask:0xf bank_mask:0xf// 000000004118: 0A8C8CFA FF01522A
	v_mul_f32_dpp v71, v42, v71 row_newbcast:3 row_mask:0xf bank_mask:0xf// 000000004120: 0A8E8EFA FF01532A
	v_cvt_f32_i32_e32 v72, v72                                 // 000000004128: 7E900B48
	v_cvt_f32_i32_e32 v73, v73                                 // 00000000412C: 7E920B49
	v_cvt_f32_i32_e32 v74, v74                                 // 000000004130: 7E940B4A
	v_cvt_f32_i32_e32 v75, v75                                 // 000000004134: 7E960B4B
	v_mul_f32_e32 v72, v13, v72                                // 000000004138: 0A90910D
	v_mul_f32_e32 v73, v13, v73                                // 00000000413C: 0A92930D
	v_mul_f32_e32 v74, v13, v74                                // 000000004140: 0A94950D
	v_mul_f32_e32 v75, v13, v75                                // 000000004144: 0A96970D
	v_mul_f32_dpp v72, v42, v72 row_newbcast:4 row_mask:0xf bank_mask:0xf// 000000004148: 0A9090FA FF01542A
	v_mul_f32_dpp v73, v42, v73 row_newbcast:5 row_mask:0xf bank_mask:0xf// 000000004150: 0A9292FA FF01552A
	v_mul_f32_dpp v74, v42, v74 row_newbcast:6 row_mask:0xf bank_mask:0xf// 000000004158: 0A9494FA FF01562A
	v_mul_f32_dpp v75, v42, v75 row_newbcast:7 row_mask:0xf bank_mask:0xf// 000000004160: 0A9696FA FF01572A
	v_cvt_f32_i32_e32 v76, v76                                 // 000000004168: 7E980B4C
	v_cvt_f32_i32_e32 v77, v77                                 // 00000000416C: 7E9A0B4D
	v_cvt_f32_i32_e32 v78, v78                                 // 000000004170: 7E9C0B4E
	v_cvt_f32_i32_e32 v79, v79                                 // 000000004174: 7E9E0B4F
	v_mul_f32_e32 v76, v14, v76                                // 000000004178: 0A98990E
	v_mul_f32_e32 v77, v14, v77                                // 00000000417C: 0A9A9B0E
	v_mul_f32_e32 v78, v14, v78                                // 000000004180: 0A9C9D0E
	v_mul_f32_e32 v79, v14, v79                                // 000000004184: 0A9E9F0E
	v_mul_f32_dpp v76, v42, v76 row_newbcast:4 row_mask:0xf bank_mask:0xf// 000000004188: 0A9898FA FF01542A
	v_mul_f32_dpp v77, v42, v77 row_newbcast:5 row_mask:0xf bank_mask:0xf// 000000004190: 0A9A9AFA FF01552A
	v_mul_f32_dpp v78, v42, v78 row_newbcast:6 row_mask:0xf bank_mask:0xf// 000000004198: 0A9C9CFA FF01562A
	v_mul_f32_dpp v79, v42, v79 row_newbcast:7 row_mask:0xf bank_mask:0xf// 0000000041A0: 0A9E9EFA FF01572A
	s_waitcnt vmcnt(4)                                         // 0000000041A8: BF8C0F74
	buffer_load_dwordx4 a[0:3], v34, s[12:15], 0 offen         // 0000000041AC: E05C1000 80830022
	v_mul_f32_e64 v44, -v128, s6                               // 0000000041B4: D105002C 20000D80
	v_mul_f32_e64 v45, -v129, s6                               // 0000000041BC: D105002D 20000D81
	v_mul_f32_e64 v46, -v130, s6                               // 0000000041C4: D105002E 20000D82
	v_mul_f32_e64 v47, -v131, s6                               // 0000000041CC: D105002F 20000D83
	v_exp_f32_e32 v44, v44                                     // 0000000041D4: 7E58412C
	v_exp_f32_e32 v45, v45                                     // 0000000041D8: 7E5A412D
	v_exp_f32_e32 v46, v46                                     // 0000000041DC: 7E5C412E
	v_exp_f32_e32 v47, v47                                     // 0000000041E0: 7E5E412F
	buffer_load_dwordx4 a[4:7], v35, s[12:15], 0 offen         // 0000000041E4: E05C1000 80830423
	v_add_f32_e64 v44, v44, 1.0                                // 0000000041EC: D101002C 0001E52C
	v_add_f32_e64 v45, v45, 1.0                                // 0000000041F4: D101002D 0001E52D
	v_add_f32_e64 v46, v46, 1.0                                // 0000000041FC: D101002E 0001E52E
	v_add_f32_e64 v47, v47, 1.0                                // 000000004204: D101002F 0001E52F
	v_rcp_f32_e32 v44, v44                                     // 00000000420C: 7E58452C
	v_rcp_f32_e32 v45, v45                                     // 000000004210: 7E5A452D
	v_rcp_f32_e32 v46, v46                                     // 000000004214: 7E5C452E
	v_rcp_f32_e32 v47, v47                                     // 000000004218: 7E5E452F
	v_mul_f32_e32 v128, v128, v44                              // 00000000421C: 0B005980
	v_mul_f32_e32 v129, v129, v45                              // 000000004220: 0B025B81
	v_mul_f32_e32 v130, v130, v46                              // 000000004224: 0B045D82
	v_mul_f32_e32 v131, v131, v47                              // 000000004228: 0B065F83
	v_mul_f32_e32 v128, v128, v64                              // 00000000422C: 0B008180
	v_mul_f32_e32 v129, v129, v65                              // 000000004230: 0B028381
	v_mul_f32_e32 v130, v130, v66                              // 000000004234: 0B048582
	v_mul_f32_e32 v131, v131, v67                              // 000000004238: 0B068783
	buffer_load_dwordx4 a[8:11], v36, s[12:15], 0 offen        // 00000000423C: E05C1000 80830824
	v_mul_f32_e64 v44, -v132, s6                               // 000000004244: D105002C 20000D84
	v_mul_f32_e64 v45, -v133, s6                               // 00000000424C: D105002D 20000D85
	v_mul_f32_e64 v46, -v134, s6                               // 000000004254: D105002E 20000D86
	v_mul_f32_e64 v47, -v135, s6                               // 00000000425C: D105002F 20000D87
	v_exp_f32_e32 v44, v44                                     // 000000004264: 7E58412C
	v_exp_f32_e32 v45, v45                                     // 000000004268: 7E5A412D
	v_exp_f32_e32 v46, v46                                     // 00000000426C: 7E5C412E
	v_exp_f32_e32 v47, v47                                     // 000000004270: 7E5E412F
	buffer_load_dwordx4 a[12:15], v37, s[12:15], 0 offen       // 000000004274: E05C1000 80830C25
	s_add_u32 s12, s78, s12                                    // 00000000427C: 800C0C4E
	s_addc_u32 s13, 0, s13                                     // 000000004280: 820D0D80
	v_add_f32_e64 v44, v44, 1.0                                // 000000004284: D101002C 0001E52C
	v_add_f32_e64 v45, v45, 1.0                                // 00000000428C: D101002D 0001E52D
	v_add_f32_e64 v46, v46, 1.0                                // 000000004294: D101002E 0001E52E
	v_add_f32_e64 v47, v47, 1.0                                // 00000000429C: D101002F 0001E52F
	v_rcp_f32_e32 v44, v44                                     // 0000000042A4: 7E58452C
	v_rcp_f32_e32 v45, v45                                     // 0000000042A8: 7E5A452D
	v_rcp_f32_e32 v46, v46                                     // 0000000042AC: 7E5C452E
	v_rcp_f32_e32 v47, v47                                     // 0000000042B0: 7E5E452F
	v_mul_f32_e32 v132, v132, v44                              // 0000000042B4: 0B085984
	v_mul_f32_e32 v133, v133, v45                              // 0000000042B8: 0B0A5B85
	v_mul_f32_e32 v134, v134, v46                              // 0000000042BC: 0B0C5D86
	v_mul_f32_e32 v135, v135, v47                              // 0000000042C0: 0B0E5F87
	v_mul_f32_e32 v132, v132, v68                              // 0000000042C4: 0B088984
	v_mul_f32_e32 v133, v133, v69                              // 0000000042C8: 0B0A8B85
	v_mul_f32_e32 v134, v134, v70                              // 0000000042CC: 0B0C8D86
	v_mul_f32_e32 v135, v135, v71                              // 0000000042D0: 0B0E8F87
	s_waitcnt vmcnt(4)                                         // 0000000042D4: BF8C0F74
	buffer_load_dwordx4 a[16:19], v34, s[12:15], 0 offen       // 0000000042D8: E05C1000 80831022
	v_mul_f32_e64 v44, -v136, s6                               // 0000000042E0: D105002C 20000D88
	v_mul_f32_e64 v45, -v137, s6                               // 0000000042E8: D105002D 20000D89
	v_mul_f32_e64 v46, -v138, s6                               // 0000000042F0: D105002E 20000D8A
	v_mul_f32_e64 v47, -v139, s6                               // 0000000042F8: D105002F 20000D8B
	v_exp_f32_e32 v44, v44                                     // 000000004300: 7E58412C
	v_exp_f32_e32 v45, v45                                     // 000000004304: 7E5A412D
	v_exp_f32_e32 v46, v46                                     // 000000004308: 7E5C412E
	v_exp_f32_e32 v47, v47                                     // 00000000430C: 7E5E412F
	buffer_load_dwordx4 a[20:23], v35, s[12:15], 0 offen       // 000000004310: E05C1000 80831423
	v_add_f32_e64 v44, v44, 1.0                                // 000000004318: D101002C 0001E52C
	v_add_f32_e64 v45, v45, 1.0                                // 000000004320: D101002D 0001E52D
	v_add_f32_e64 v46, v46, 1.0                                // 000000004328: D101002E 0001E52E
	v_add_f32_e64 v47, v47, 1.0                                // 000000004330: D101002F 0001E52F
	v_rcp_f32_e32 v44, v44                                     // 000000004338: 7E58452C
	v_rcp_f32_e32 v45, v45                                     // 00000000433C: 7E5A452D
	v_rcp_f32_e32 v46, v46                                     // 000000004340: 7E5C452E
	v_rcp_f32_e32 v47, v47                                     // 000000004344: 7E5E452F
	v_mul_f32_e32 v136, v136, v44                              // 000000004348: 0B105988
	v_mul_f32_e32 v137, v137, v45                              // 00000000434C: 0B125B89
	v_mul_f32_e32 v138, v138, v46                              // 000000004350: 0B145D8A
	v_mul_f32_e32 v139, v139, v47                              // 000000004354: 0B165F8B
	v_mul_f32_e32 v136, v136, v72                              // 000000004358: 0B109188
	v_mul_f32_e32 v137, v137, v73                              // 00000000435C: 0B129389
	v_mul_f32_e32 v138, v138, v74                              // 000000004360: 0B14958A
	v_mul_f32_e32 v139, v139, v75                              // 000000004364: 0B16978B
	buffer_load_dwordx4 a[24:27], v36, s[12:15], 0 offen       // 000000004368: E05C1000 80831824
	v_mul_f32_e64 v44, -v140, s6                               // 000000004370: D105002C 20000D8C
	v_mul_f32_e64 v45, -v141, s6                               // 000000004378: D105002D 20000D8D
	v_mul_f32_e64 v46, -v142, s6                               // 000000004380: D105002E 20000D8E
	v_mul_f32_e64 v47, -v143, s6                               // 000000004388: D105002F 20000D8F
	v_exp_f32_e32 v44, v44                                     // 000000004390: 7E58412C
	v_exp_f32_e32 v45, v45                                     // 000000004394: 7E5A412D
	v_exp_f32_e32 v46, v46                                     // 000000004398: 7E5C412E
	v_exp_f32_e32 v47, v47                                     // 00000000439C: 7E5E412F
	buffer_load_dwordx4 a[28:31], v37, s[12:15], 0 offen       // 0000000043A0: E05C1000 80831C25
	v_add_f32_e64 v44, v44, 1.0                                // 0000000043A8: D101002C 0001E52C
	v_add_f32_e64 v45, v45, 1.0                                // 0000000043B0: D101002D 0001E52D
	v_add_f32_e64 v46, v46, 1.0                                // 0000000043B8: D101002E 0001E52E
	v_add_f32_e64 v47, v47, 1.0                                // 0000000043C0: D101002F 0001E52F
	v_rcp_f32_e32 v44, v44                                     // 0000000043C8: 7E58452C
	v_rcp_f32_e32 v45, v45                                     // 0000000043CC: 7E5A452D
	v_rcp_f32_e32 v46, v46                                     // 0000000043D0: 7E5C452E
	v_rcp_f32_e32 v47, v47                                     // 0000000043D4: 7E5E452F
	v_mul_f32_e32 v140, v140, v44                              // 0000000043D8: 0B18598C
	v_mul_f32_e32 v141, v141, v45                              // 0000000043DC: 0B1A5B8D
	v_mul_f32_e32 v142, v142, v46                              // 0000000043E0: 0B1C5D8E
	v_mul_f32_e32 v143, v143, v47                              // 0000000043E4: 0B1E5F8F
	v_mul_f32_e32 v140, v140, v76                              // 0000000043E8: 0B18998C
	v_mul_f32_e32 v141, v141, v77                              // 0000000043EC: 0B1A9B8D
	v_mul_f32_e32 v142, v142, v78                              // 0000000043F0: 0B1C9D8E
	v_mul_f32_e32 v143, v143, v79                              // 0000000043F4: 0B1E9F8F
	v_mul_f32_dpp v128, v16, v128 row_newbcast:0 row_mask:0xf bank_mask:0xf// 0000000043F8: 0B0100FA FF015010
	v_mul_f32_dpp v129, v16, v129 row_newbcast:1 row_mask:0xf bank_mask:0xf// 000000004400: 0B0302FA FF015110
	v_mul_f32_dpp v130, v16, v130 row_newbcast:2 row_mask:0xf bank_mask:0xf// 000000004408: 0B0504FA FF015210
	v_mul_f32_dpp v131, v16, v131 row_newbcast:3 row_mask:0xf bank_mask:0xf// 000000004410: 0B0706FA FF015310
	v_mul_f32_dpp v132, v16, v132 row_newbcast:0 row_mask:0xf bank_mask:0xf// 000000004418: 0B0908FA FF015010
	v_mul_f32_dpp v133, v16, v133 row_newbcast:1 row_mask:0xf bank_mask:0xf// 000000004420: 0B0B0AFA FF015110
	v_mul_f32_dpp v134, v16, v134 row_newbcast:2 row_mask:0xf bank_mask:0xf// 000000004428: 0B0D0CFA FF015210
	v_mul_f32_dpp v135, v16, v135 row_newbcast:3 row_mask:0xf bank_mask:0xf// 000000004430: 0B0F0EFA FF015310
	v_mul_f32_dpp v136, v16, v136 row_newbcast:4 row_mask:0xf bank_mask:0xf// 000000004438: 0B1110FA FF015410
	v_mul_f32_dpp v137, v16, v137 row_newbcast:5 row_mask:0xf bank_mask:0xf// 000000004440: 0B1312FA FF015510
	v_mul_f32_dpp v138, v16, v138 row_newbcast:6 row_mask:0xf bank_mask:0xf// 000000004448: 0B1514FA FF015610
	v_mul_f32_dpp v139, v16, v139 row_newbcast:7 row_mask:0xf bank_mask:0xf// 000000004450: 0B1716FA FF015710
	v_mul_f32_dpp v140, v16, v140 row_newbcast:4 row_mask:0xf bank_mask:0xf// 000000004458: 0B1918FA FF015410
	v_mul_f32_dpp v141, v16, v141 row_newbcast:5 row_mask:0xf bank_mask:0xf// 000000004460: 0B1B1AFA FF015510
	v_mul_f32_dpp v142, v16, v142 row_newbcast:6 row_mask:0xf bank_mask:0xf// 000000004468: 0B1D1CFA FF015610
	v_mul_f32_dpp v143, v16, v143 row_newbcast:7 row_mask:0xf bank_mask:0xf// 000000004470: 0B1F1EFA FF015710
	v_lshlrev_b32_e32 v44, 2, v0                               // 000000004478: 24580082
	s_mul_i32 s60, s82, s71                                    // 00000000447C: 923C4752
	v_add_u32_e64 v80, v44, s60                                // 000000004480: D1340050 0000792C
	v_mov_b32_e32 v81, 0                                       // 000000004488: 7EA20280
	s_mul_i32 s60, s83, s71                                    // 00000000448C: 923C4753
	v_add_u32_e64 v82, v44, s60                                // 000000004490: D1340052 0000792C
	v_mov_b32_e32 v83, 0                                       // 000000004498: 7EA60280
	s_mul_i32 s60, s84, s71                                    // 00000000449C: 923C4754
	v_add_u32_e64 v84, v44, s60                                // 0000000044A0: D1340054 0000792C
	v_mov_b32_e32 v85, 0                                       // 0000000044A8: 7EAA0280
	s_mul_i32 s60, s85, s71                                    // 0000000044AC: 923C4755
	v_add_u32_e64 v86, v44, s60                                // 0000000044B0: D1340056 0000792C
	v_mov_b32_e32 v87, 0                                       // 0000000044B8: 7EAE0280
	s_mul_i32 s60, s86, s71                                    // 0000000044BC: 923C4756
	v_add_u32_e64 v88, v44, s60                                // 0000000044C0: D1340058 0000792C
	v_mov_b32_e32 v89, 0                                       // 0000000044C8: 7EB20280
	s_mul_i32 s60, s87, s71                                    // 0000000044CC: 923C4757
	v_add_u32_e64 v90, v44, s60                                // 0000000044D0: D134005A 0000792C
	v_mov_b32_e32 v91, 0                                       // 0000000044D8: 7EB60280
	s_mul_i32 s60, s88, s71                                    // 0000000044DC: 923C4758
	v_add_u32_e64 v92, v44, s60                                // 0000000044E0: D134005C 0000792C
	v_mov_b32_e32 v93, 0                                       // 0000000044E8: 7EBA0280
	s_mul_i32 s60, s89, s71                                    // 0000000044EC: 923C4759
	v_add_u32_e64 v94, v44, s60                                // 0000000044F0: D134005E 0000792C
	v_mov_b32_e32 v95, 0                                       // 0000000044F8: 7EBE0280
	buffer_load_dword v11, v5, s[16:19], 0 offen               // 0000000044FC: E0501000 80040B05
	v_mov_b32_e32 v20, 0x358637bd                              // 000000004504: 7E2802FF 358637BD
	v_mov_b32_e32 v21, 0x358637bd                              // 00000000450C: 7E2A02FF 358637BD
	v_max3_f32 v20, |v128|, |v129|, v20                        // 000000004514: D1D30314 04530380
	v_max3_f32 v20, |v130|, |v131|, v20                        // 00000000451C: D1D30314 04530782
	v_max3_f32 v21, |v132|, |v133|, v21                        // 000000004524: D1D30315 04570B84
	v_max3_f32 v21, |v134|, |v135|, v21                        // 00000000452C: D1D30315 04570F86
	v_max3_f32 v20, |v136|, |v137|, v20                        // 000000004534: D1D30314 04531388
	v_max3_f32 v20, |v138|, |v139|, v20                        // 00000000453C: D1D30314 0453178A
	v_max3_f32 v21, |v140|, |v141|, v21                        // 000000004544: D1D30315 04571B8C
	v_max3_f32 v21, |v142|, |v143|, v21                        // 00000000454C: D1D30315 04571F8E
	v_lshlrev_b32_e32 v44, 3, v0                               // 000000004554: 24580083
	s_mul_i32 s60, 0x200, s7                                   // 000000004558: 923C07FF 00000200
	v_add_u32_e32 v44, s60, v44                                // 000000004560: 6858583C
	ds_write_b64 v44, v[20:21] offset:16640                    // 000000004564: D89A4100 0000142C
	s_waitcnt lgkmcnt(0)                                       // 00000000456C: BF8CC07F
	s_barrier                                                  // 000000004570: BF8A0000
	v_and_b32_e32 v44, 15, v0                                  // 000000004574: 2658008F
	v_lshlrev_b32_e32 v44, 3, v44                              // 000000004578: 24585883
	ds_read_b64 v[96:97], v44 offset:16640                     // 00000000457C: D8EC4100 6000002C
	ds_read_b64 v[98:99], v44 offset:16768                     // 000000004584: D8EC4180 6200002C
	ds_read_b64 v[100:101], v44 offset:16896                   // 00000000458C: D8EC4200 6400002C
	ds_read_b64 v[102:103], v44 offset:17024                   // 000000004594: D8EC4280 6600002C
	ds_read_b64 v[104:105], v44 offset:17152                   // 00000000459C: D8EC4300 6800002C
	ds_read_b64 v[106:107], v44 offset:17280                   // 0000000045A4: D8EC4380 6A00002C
	ds_read_b64 v[108:109], v44 offset:17408                   // 0000000045AC: D8EC4400 6C00002C
	ds_read_b64 v[110:111], v44 offset:17536                   // 0000000045B4: D8EC4480 6E00002C
	ds_read_b64 v[112:113], v44 offset:17664                   // 0000000045BC: D8EC4500 7000002C
	ds_read_b64 v[114:115], v44 offset:17792                   // 0000000045C4: D8EC4580 7200002C
	ds_read_b64 v[116:117], v44 offset:17920                   // 0000000045CC: D8EC4600 7400002C
	ds_read_b64 v[118:119], v44 offset:18048                   // 0000000045D4: D8EC4680 7600002C
	ds_read_b64 v[120:121], v44 offset:18176                   // 0000000045DC: D8EC4700 7800002C
	ds_read_b64 v[122:123], v44 offset:18304                   // 0000000045E4: D8EC4780 7A00002C
	ds_read_b64 v[124:125], v44 offset:18432                   // 0000000045EC: D8EC4800 7C00002C
	ds_read_b64 v[126:127], v44 offset:18560                   // 0000000045F4: D8EC4880 7E00002C
	s_waitcnt lgkmcnt(0)                                       // 0000000045FC: BF8CC07F
	v_max3_f32 v20, |v96|, |v98|, v20                          // 000000004600: D1D30314 0452C560
	v_max3_f32 v21, |v97|, |v99|, v21                          // 000000004608: D1D30315 0456C761
	v_max3_f32 v20, |v100|, |v102|, v20                        // 000000004610: D1D30314 0452CD64
	v_max3_f32 v21, |v101|, |v103|, v21                        // 000000004618: D1D30315 0456CF65
	v_max3_f32 v20, |v104|, |v106|, v20                        // 000000004620: D1D30314 0452D568
	v_max3_f32 v21, |v105|, |v107|, v21                        // 000000004628: D1D30315 0456D769
	v_max3_f32 v20, |v108|, |v110|, v20                        // 000000004630: D1D30314 0452DD6C
	v_max3_f32 v21, |v109|, |v111|, v21                        // 000000004638: D1D30315 0456DF6D
	v_max3_f32 v20, |v112|, |v114|, v20                        // 000000004640: D1D30314 0452E570
	v_max3_f32 v21, |v113|, |v115|, v21                        // 000000004648: D1D30315 0456E771
	v_max3_f32 v20, |v116|, |v118|, v20                        // 000000004650: D1D30314 0452ED74
	v_max3_f32 v21, |v117|, |v119|, v21                        // 000000004658: D1D30315 0456EF75
	v_max3_f32 v20, |v120|, |v122|, v20                        // 000000004660: D1D30314 0452F578
	v_max3_f32 v21, |v121|, |v123|, v21                        // 000000004668: D1D30315 0456F779
	v_max3_f32 v20, |v124|, |v126|, v20                        // 000000004670: D1D30314 0452FD7C
	v_max3_f32 v21, |v125|, |v127|, v21                        // 000000004678: D1D30315 0456FF7D
	v_rcp_f32_e32 v20, v20                                     // 000000004680: 7E284514
	v_rcp_f32_e32 v21, v21                                     // 000000004684: 7E2A4515
	v_mul_f32_e32 v20, 0x42fe0000, v20                         // 000000004688: 0A2828FF 42FE0000
	v_mul_f32_e32 v21, 0x42fe0000, v21                         // 000000004690: 0A2A2AFF 42FE0000
	v_mul_f32_e32 v128, v20, v128                              // 000000004698: 0B010114
	v_mul_f32_e32 v129, v20, v129                              // 00000000469C: 0B030314
	v_mul_f32_e32 v130, v20, v130                              // 0000000046A0: 0B050514
	v_mul_f32_e32 v131, v20, v131                              // 0000000046A4: 0B070714
	v_cvt_i32_f32_e32 v128, v128                               // 0000000046A8: 7F001180
	v_cvt_i32_f32_e32 v129, v129                               // 0000000046AC: 7F021181
	v_cvt_i32_f32_e32 v130, v130                               // 0000000046B0: 7F041182
	v_cvt_i32_f32_e32 v131, v131                               // 0000000046B4: 7F061183
	v_perm_b32 v128, v129, v128, s53                           // 0000000046B8: D1ED0080 00D70181
	v_perm_b32 v128, v130, v128, s54                           // 0000000046C0: D1ED0080 00DB0182
	v_perm_b32 v128, v131, v128, s55                           // 0000000046C8: D1ED0080 00DF0183
	v_mul_f32_e32 v132, v21, v132                              // 0000000046D0: 0B090915
	v_mul_f32_e32 v133, v21, v133                              // 0000000046D4: 0B0B0B15
	v_mul_f32_e32 v134, v21, v134                              // 0000000046D8: 0B0D0D15
	v_mul_f32_e32 v135, v21, v135                              // 0000000046DC: 0B0F0F15
	v_cvt_i32_f32_e32 v132, v132                               // 0000000046E0: 7F081184
	v_cvt_i32_f32_e32 v133, v133                               // 0000000046E4: 7F0A1185
	v_cvt_i32_f32_e32 v134, v134                               // 0000000046E8: 7F0C1186
	v_cvt_i32_f32_e32 v135, v135                               // 0000000046EC: 7F0E1187
	v_perm_b32 v129, v133, v132, s53                           // 0000000046F0: D1ED0081 00D70985
	v_perm_b32 v129, v134, v129, s54                           // 0000000046F8: D1ED0081 00DB0386
	v_perm_b32 v129, v135, v129, s55                           // 000000004700: D1ED0081 00DF0387
	v_mul_f32_e32 v136, v20, v136                              // 000000004708: 0B111114
	v_mul_f32_e32 v137, v20, v137                              // 00000000470C: 0B131314
	v_mul_f32_e32 v138, v20, v138                              // 000000004710: 0B151514
	v_mul_f32_e32 v139, v20, v139                              // 000000004714: 0B171714
	v_cvt_i32_f32_e32 v136, v136                               // 000000004718: 7F101188
	v_cvt_i32_f32_e32 v137, v137                               // 00000000471C: 7F121189
	v_cvt_i32_f32_e32 v138, v138                               // 000000004720: 7F14118A
	v_cvt_i32_f32_e32 v139, v139                               // 000000004724: 7F16118B
	v_perm_b32 v130, v137, v136, s53                           // 000000004728: D1ED0082 00D71189
	v_perm_b32 v130, v138, v130, s54                           // 000000004730: D1ED0082 00DB058A
	v_perm_b32 v130, v139, v130, s55                           // 000000004738: D1ED0082 00DF058B
	v_mul_f32_e32 v140, v21, v140                              // 000000004740: 0B191915
	v_mul_f32_e32 v141, v21, v141                              // 000000004744: 0B1B1B15
	v_mul_f32_e32 v142, v21, v142                              // 000000004748: 0B1D1D15
	v_mul_f32_e32 v143, v21, v143                              // 00000000474C: 0B1F1F15
	v_cvt_i32_f32_e32 v140, v140                               // 000000004750: 7F18118C
	v_cvt_i32_f32_e32 v141, v141                               // 000000004754: 7F1A118D
	v_cvt_i32_f32_e32 v142, v142                               // 000000004758: 7F1C118E
	v_cvt_i32_f32_e32 v143, v143                               // 00000000475C: 7F1E118F
	v_perm_b32 v131, v141, v140, s53                           // 000000004760: D1ED0083 00D7198D
	v_perm_b32 v131, v142, v131, s54                           // 000000004768: D1ED0083 00DB078E
	v_perm_b32 v131, v143, v131, s55                           // 000000004770: D1ED0083 00DF078F
	v_rcp_f32_e32 v22, v20                                     // 000000004778: 7E2C4514
	v_rcp_f32_e32 v23, v21                                     // 00000000477C: 7E2E4515
	v_lshrrev_b32_e32 v44, 5, v0                               // 000000004780: 20580085
	v_lshlrev_b32_e32 v45, 5, v44                              // 000000004784: 245A5885
	v_and_b32_e32 v44, 31, v0                                  // 000000004788: 2658009F
	v_lshrrev_b32_e32 v46, 4, v44                              // 00000000478C: 205C5884
	v_add_u32_e32 v45, v46, v45                                // 000000004790: 685A5B2E
	v_and_b32_e32 v44, 15, v0                                  // 000000004794: 2658008F
	v_lshlrev_b32_e32 v44, 1, v44                              // 000000004798: 24585881
	v_add_u32_e32 v45, v44, v45                                // 00000000479C: 685A5B2C
	v_lshlrev_b32_e32 v44, 2, v45                              // 0000000047A0: 24585A82
	s_mul_i32 s60, 0x100, s7                                   // 0000000047A4: 923C07FF 00000100
	v_add_u32_e64 v44, v44, s60                                // 0000000047AC: D134002C 0000792C
	ds_write_b32 v44, v128 offset:18688                        // 0000000047B4: D81A4900 0000802C
	ds_write_b32 v44, v129 offset:20736                        // 0000000047BC: D81A5100 0000812C
	ds_write_b32 v44, v130 offset:19712                        // 0000000047C4: D81A4D00 0000822C
	ds_write_b32 v44, v131 offset:21760                        // 0000000047CC: D81A5500 0000832C
	s_waitcnt lgkmcnt(0)                                       // 0000000047D4: BF8CC07F
	s_barrier                                                  // 0000000047D8: BF8A0000
	v_lshrrev_b32_e32 v44, 4, v0                               // 0000000047DC: 20580084
	v_lshlrev_b32_e32 v45, 6, v44                              // 0000000047E0: 245A5886
	v_and_b32_e32 v44, 15, v0                                  // 0000000047E4: 2658008F
	v_lshlrev_b32_e32 v44, 1, v44                              // 0000000047E8: 24585881
	v_add_u32_e32 v45, v44, v45                                // 0000000047EC: 685A5B2C
	v_lshlrev_b32_e32 v44, 2, v45                              // 0000000047F0: 24585A82
	ds_read_b64 v[128:129], v44 offset:18688                   // 0000000047F4: D8EC4900 8000002C
	ds_read_b64 v[130:131], v44 offset:18816                   // 0000000047FC: D8EC4980 8200002C
	ds_read_b64 v[132:133], v44 offset:19712                   // 000000004804: D8EC4D00 8400002C
	ds_read_b64 v[134:135], v44 offset:19840                   // 00000000480C: D8EC4D80 8600002C
	ds_read_b64 v[136:137], v44 offset:20736                   // 000000004814: D8EC5100 8800002C
	ds_read_b64 v[138:139], v44 offset:20864                   // 00000000481C: D8EC5180 8A00002C
	ds_read_b64 v[140:141], v44 offset:21760                   // 000000004824: D8EC5500 8C00002C
	ds_read_b64 v[142:143], v44 offset:21888                   // 00000000482C: D8EC5580 8E00002C
	s_add_u32 s12, s56, s12                                    // 000000004834: 800C0C38
	s_addc_u32 s13, 0, s13                                     // 000000004838: 820D0D80
	s_add_u32 s16, s79, s16                                    // 00000000483C: 8010104F
	s_addc_u32 s17, 0, s17                                     // 000000004840: 82111180
	s_mov_b32 s80, 0                                           // 000000004844: BED00080
	s_waitcnt vmcnt(0) expcnt(0) lgkmcnt(0)                    // 000000004848: BF8C0000

000000000000484c <label_0693>:
	s_waitcnt vmcnt(21)                                        // 00000000484C: BF8C4F75
	s_barrier                                                  // 000000004850: BF8A0000
	v_mfma_i32_16x16x32_i8 v[144:147], a[0:1], v[128:129], 0   // 000000004854: D3D70090 0A030100
	v_mfma_i32_16x16x32_i8 v[144:147], a[2:3], v[130:131], v[144:147]// 00000000485C: D3D70090 0E430502
	buffer_load_dwordx4 a[32:35], v34, s[12:15], 0 offen       // 000000004864: E05C1000 80832022
	v_mfma_i32_16x16x32_i8 v[148:151], a[0:1], v[136:137], 0   // 00000000486C: D3D70094 0A031100
	v_mfma_i32_16x16x32_i8 v[148:151], a[2:3], v[138:139], v[148:151]// 000000004874: D3D70094 0E531502
	v_mfma_i32_16x16x32_i8 v[152:155], a[4:5], v[128:129], 0   // 00000000487C: D3D70098 0A030104
	v_mfma_i32_16x16x32_i8 v[152:155], a[6:7], v[130:131], v[152:155]// 000000004884: D3D70098 0E630506
	buffer_load_dwordx4 a[36:39], v35, s[12:15], 0 offen       // 00000000488C: E05C1000 80832423
	v_mfma_i32_16x16x32_i8 v[156:159], a[4:5], v[136:137], 0   // 000000004894: D3D7009C 0A031104
	v_mfma_i32_16x16x32_i8 v[156:159], a[6:7], v[138:139], v[156:159]// 00000000489C: D3D7009C 0E731506
	v_mfma_i32_16x16x32_i8 v[160:163], a[8:9], v[128:129], 0   // 0000000048A4: D3D700A0 0A030108
	v_mfma_i32_16x16x32_i8 v[160:163], a[10:11], v[130:131], v[160:163]// 0000000048AC: D3D700A0 0E83050A
	buffer_load_dwordx4 a[40:43], v36, s[12:15], 0 offen       // 0000000048B4: E05C1000 80832824
	v_mfma_i32_16x16x32_i8 v[164:167], a[8:9], v[136:137], 0   // 0000000048BC: D3D700A4 0A031108
	v_mfma_i32_16x16x32_i8 v[164:167], a[10:11], v[138:139], v[164:167]// 0000000048C4: D3D700A4 0E93150A
	v_mfma_i32_16x16x32_i8 v[168:171], a[12:13], v[128:129], 0 // 0000000048CC: D3D700A8 0A03010C
	v_mfma_i32_16x16x32_i8 v[168:171], a[14:15], v[130:131], v[168:171]// 0000000048D4: D3D700A8 0EA3050E
	buffer_load_dwordx4 a[44:47], v37, s[12:15], 0 offen       // 0000000048DC: E05C1000 80832C25
	s_add_u32 s12, s78, s12                                    // 0000000048E4: 800C0C4E
	s_addc_u32 s13, 0, s13                                     // 0000000048E8: 820D0D80
	v_mfma_i32_16x16x32_i8 v[172:175], a[12:13], v[136:137], 0 // 0000000048EC: D3D700AC 0A03110C
	v_mfma_i32_16x16x32_i8 v[172:175], a[14:15], v[138:139], v[172:175]// 0000000048F4: D3D700AC 0EB3150E
	s_waitcnt vmcnt(20)                                        // 0000000048FC: BF8C4F74
	v_mfma_i32_16x16x32_i8 v[144:147], a[16:17], v[132:133], v[144:147]// 000000004900: D3D70090 0E430910
	v_mfma_i32_16x16x32_i8 v[144:147], a[18:19], v[134:135], v[144:147]// 000000004908: D3D70090 0E430D12
	buffer_load_dwordx4 a[48:51], v34, s[12:15], 0 offen       // 000000004910: E05C1000 80833022
	v_mfma_i32_16x16x32_i8 v[148:151], a[16:17], v[140:141], v[148:151]// 000000004918: D3D70094 0E531910
	v_mfma_i32_16x16x32_i8 v[148:151], a[18:19], v[142:143], v[148:151]// 000000004920: D3D70094 0E531D12
	buffer_load_dword v12, v5, s[16:19], 0 offen               // 000000004928: E0501000 80040C05
	v_mfma_i32_16x16x32_i8 v[152:155], a[20:21], v[132:133], v[152:155]// 000000004930: D3D70098 0E630914
	v_mfma_i32_16x16x32_i8 v[152:155], a[22:23], v[134:135], v[152:155]// 000000004938: D3D70098 0E630D16
	buffer_load_dwordx4 a[52:55], v35, s[12:15], 0 offen       // 000000004940: E05C1000 80833423
	v_mfma_i32_16x16x32_i8 v[156:159], a[20:21], v[140:141], v[156:159]// 000000004948: D3D7009C 0E731914
	v_mfma_i32_16x16x32_i8 v[156:159], a[22:23], v[142:143], v[156:159]// 000000004950: D3D7009C 0E731D16
	v_mfma_i32_16x16x32_i8 v[160:163], a[24:25], v[132:133], v[160:163]// 000000004958: D3D700A0 0E830918
	v_mfma_i32_16x16x32_i8 v[160:163], a[26:27], v[134:135], v[160:163]// 000000004960: D3D700A0 0E830D1A
	buffer_load_dwordx4 a[56:59], v36, s[12:15], 0 offen       // 000000004968: E05C1000 80833824
	v_mfma_i32_16x16x32_i8 v[164:167], a[24:25], v[140:141], v[164:167]// 000000004970: D3D700A4 0E931918
	v_mfma_i32_16x16x32_i8 v[164:167], a[26:27], v[142:143], v[164:167]// 000000004978: D3D700A4 0E931D1A
	v_mfma_i32_16x16x32_i8 v[168:171], a[28:29], v[132:133], v[168:171]// 000000004980: D3D700A8 0EA3091C
	v_mfma_i32_16x16x32_i8 v[168:171], a[30:31], v[134:135], v[168:171]// 000000004988: D3D700A8 0EA30D1E
	buffer_load_dwordx4 a[60:63], v37, s[12:15], 0 offen       // 000000004990: E05C1000 80833C25
	v_mfma_i32_16x16x32_i8 v[172:175], a[28:29], v[140:141], v[172:175]// 000000004998: D3D700AC 0EB3191C
	v_mfma_i32_16x16x32_i8 v[172:175], a[30:31], v[142:143], v[172:175]// 0000000049A0: D3D700AC 0EB31D1E
	s_add_u32 s60, 0x200, s80                                  // 0000000049A8: 803C50FF 00000200
	s_cmp_lt_u32 s60, s81                                      // 0000000049B0: BF0A513C
	s_cselect_b32 s56, s56, 0                                  // 0000000049B4: 85388038
	s_cselect_b32 s78, s78, 0                                  // 0000000049B8: 854E804E
	s_cselect_b32 s79, s79, 0                                  // 0000000049BC: 854F804F
	s_add_u32 s12, s56, s12                                    // 0000000049C0: 800C0C38
	s_addc_u32 s13, 0, s13                                     // 0000000049C4: 820D0D80
	s_add_u32 s16, s79, s16                                    // 0000000049C8: 8010104F
	s_addc_u32 s17, 0, s17                                     // 0000000049CC: 82111180
	v_cvt_f32_i32_e32 v144, v144                               // 0000000049D0: 7F200B90
	v_cvt_f32_i32_e32 v145, v145                               // 0000000049D4: 7F220B91
	v_cvt_f32_i32_e32 v146, v146                               // 0000000049D8: 7F240B92
	v_cvt_f32_i32_e32 v147, v147                               // 0000000049DC: 7F260B93
	v_mul_f32_e32 v144, v22, v144                              // 0000000049E0: 0B212116
	v_mul_f32_e32 v145, v22, v145                              // 0000000049E4: 0B232316
	v_mul_f32_e32 v146, v22, v146                              // 0000000049E8: 0B252516
	v_mul_f32_e32 v147, v22, v147                              // 0000000049EC: 0B272716
	v_mul_f32_dpp v144, v11, v144 row_newbcast:0 row_mask:0xf bank_mask:0xf// 0000000049F0: 0B2120FA FF01500B
	v_mul_f32_dpp v145, v11, v145 row_newbcast:1 row_mask:0xf bank_mask:0xf// 0000000049F8: 0B2322FA FF01510B
	v_mul_f32_dpp v146, v11, v146 row_newbcast:2 row_mask:0xf bank_mask:0xf// 000000004A00: 0B2524FA FF01520B
	v_mul_f32_dpp v147, v11, v147 row_newbcast:3 row_mask:0xf bank_mask:0xf// 000000004A08: 0B2726FA FF01530B
	v_mul_f32_e32 v144, v17, v144                              // 000000004A10: 0B212111
	v_mul_f32_e32 v145, v17, v145                              // 000000004A14: 0B232311
	v_mul_f32_e32 v146, v17, v146                              // 000000004A18: 0B252511
	v_mul_f32_e32 v147, v17, v147                              // 000000004A1C: 0B272711
	v_cvt_f32_i32_e32 v148, v148                               // 000000004A20: 7F280B94
	v_cvt_f32_i32_e32 v149, v149                               // 000000004A24: 7F2A0B95
	v_cvt_f32_i32_e32 v150, v150                               // 000000004A28: 7F2C0B96
	v_cvt_f32_i32_e32 v151, v151                               // 000000004A2C: 7F2E0B97
	v_mul_f32_e32 v148, v23, v148                              // 000000004A30: 0B292917
	v_mul_f32_e32 v149, v23, v149                              // 000000004A34: 0B2B2B17
	v_mul_f32_e32 v150, v23, v150                              // 000000004A38: 0B2D2D17
	v_mul_f32_e32 v151, v23, v151                              // 000000004A3C: 0B2F2F17
	v_mul_f32_dpp v148, v11, v148 row_newbcast:0 row_mask:0xf bank_mask:0xf// 000000004A40: 0B2928FA FF01500B
	v_mul_f32_dpp v149, v11, v149 row_newbcast:1 row_mask:0xf bank_mask:0xf// 000000004A48: 0B2B2AFA FF01510B
	v_mul_f32_dpp v150, v11, v150 row_newbcast:2 row_mask:0xf bank_mask:0xf// 000000004A50: 0B2D2CFA FF01520B
	v_mul_f32_dpp v151, v11, v151 row_newbcast:3 row_mask:0xf bank_mask:0xf// 000000004A58: 0B2F2EFA FF01530B
	v_mul_f32_e32 v148, v18, v148                              // 000000004A60: 0B292912
	v_mul_f32_e32 v149, v18, v149                              // 000000004A64: 0B2B2B12
	v_mul_f32_e32 v150, v18, v150                              // 000000004A68: 0B2D2D12
	v_mul_f32_e32 v151, v18, v151                              // 000000004A6C: 0B2F2F12
	v_cvt_f32_i32_e32 v152, v152                               // 000000004A70: 7F300B98
	v_cvt_f32_i32_e32 v153, v153                               // 000000004A74: 7F320B99
	v_cvt_f32_i32_e32 v154, v154                               // 000000004A78: 7F340B9A
	v_cvt_f32_i32_e32 v155, v155                               // 000000004A7C: 7F360B9B
	v_mul_f32_e32 v152, v22, v152                              // 000000004A80: 0B313116
	v_mul_f32_e32 v153, v22, v153                              // 000000004A84: 0B333316
	v_mul_f32_e32 v154, v22, v154                              // 000000004A88: 0B353516
	v_mul_f32_e32 v155, v22, v155                              // 000000004A8C: 0B373716
	v_mul_f32_dpp v152, v11, v152 row_newbcast:4 row_mask:0xf bank_mask:0xf// 000000004A90: 0B3130FA FF01540B
	v_mul_f32_dpp v153, v11, v153 row_newbcast:5 row_mask:0xf bank_mask:0xf// 000000004A98: 0B3332FA FF01550B
	v_mul_f32_dpp v154, v11, v154 row_newbcast:6 row_mask:0xf bank_mask:0xf// 000000004AA0: 0B3534FA FF01560B
	v_mul_f32_dpp v155, v11, v155 row_newbcast:7 row_mask:0xf bank_mask:0xf// 000000004AA8: 0B3736FA FF01570B
	v_mul_f32_e32 v152, v17, v152                              // 000000004AB0: 0B313111
	v_mul_f32_e32 v153, v17, v153                              // 000000004AB4: 0B333311
	v_mul_f32_e32 v154, v17, v154                              // 000000004AB8: 0B353511
	v_mul_f32_e32 v155, v17, v155                              // 000000004ABC: 0B373711
	v_cvt_f32_i32_e32 v156, v156                               // 000000004AC0: 7F380B9C
	v_cvt_f32_i32_e32 v157, v157                               // 000000004AC4: 7F3A0B9D
	v_cvt_f32_i32_e32 v158, v158                               // 000000004AC8: 7F3C0B9E
	v_cvt_f32_i32_e32 v159, v159                               // 000000004ACC: 7F3E0B9F
	v_mul_f32_e32 v156, v23, v156                              // 000000004AD0: 0B393917
	v_mul_f32_e32 v157, v23, v157                              // 000000004AD4: 0B3B3B17
	v_mul_f32_e32 v158, v23, v158                              // 000000004AD8: 0B3D3D17
	v_mul_f32_e32 v159, v23, v159                              // 000000004ADC: 0B3F3F17
	v_mul_f32_dpp v156, v11, v156 row_newbcast:4 row_mask:0xf bank_mask:0xf// 000000004AE0: 0B3938FA FF01540B
	v_mul_f32_dpp v157, v11, v157 row_newbcast:5 row_mask:0xf bank_mask:0xf// 000000004AE8: 0B3B3AFA FF01550B
	v_mul_f32_dpp v158, v11, v158 row_newbcast:6 row_mask:0xf bank_mask:0xf// 000000004AF0: 0B3D3CFA FF01560B
	v_mul_f32_dpp v159, v11, v159 row_newbcast:7 row_mask:0xf bank_mask:0xf// 000000004AF8: 0B3F3EFA FF01570B
	v_mul_f32_e32 v156, v18, v156                              // 000000004B00: 0B393912
	v_mul_f32_e32 v157, v18, v157                              // 000000004B04: 0B3B3B12
	v_mul_f32_e32 v158, v18, v158                              // 000000004B08: 0B3D3D12
	v_mul_f32_e32 v159, v18, v159                              // 000000004B0C: 0B3F3F12
	v_cvt_f32_i32_e32 v160, v160                               // 000000004B10: 7F400BA0
	v_cvt_f32_i32_e32 v161, v161                               // 000000004B14: 7F420BA1
	v_cvt_f32_i32_e32 v162, v162                               // 000000004B18: 7F440BA2
	v_cvt_f32_i32_e32 v163, v163                               // 000000004B1C: 7F460BA3
	v_mul_f32_e32 v160, v22, v160                              // 000000004B20: 0B414116
	v_mul_f32_e32 v161, v22, v161                              // 000000004B24: 0B434316
	v_mul_f32_e32 v162, v22, v162                              // 000000004B28: 0B454516
	v_mul_f32_e32 v163, v22, v163                              // 000000004B2C: 0B474716
	v_mul_f32_dpp v160, v11, v160 row_newbcast:8 row_mask:0xf bank_mask:0xf// 000000004B30: 0B4140FA FF01580B
	v_mul_f32_dpp v161, v11, v161 row_newbcast:9 row_mask:0xf bank_mask:0xf// 000000004B38: 0B4342FA FF01590B
	v_mul_f32_dpp v162, v11, v162 row_newbcast:10 row_mask:0xf bank_mask:0xf// 000000004B40: 0B4544FA FF015A0B
	v_mul_f32_dpp v163, v11, v163 row_newbcast:11 row_mask:0xf bank_mask:0xf// 000000004B48: 0B4746FA FF015B0B
	v_mul_f32_e32 v160, v17, v160                              // 000000004B50: 0B414111
	v_mul_f32_e32 v161, v17, v161                              // 000000004B54: 0B434311
	v_mul_f32_e32 v162, v17, v162                              // 000000004B58: 0B454511
	v_mul_f32_e32 v163, v17, v163                              // 000000004B5C: 0B474711
	v_cvt_f32_i32_e32 v164, v164                               // 000000004B60: 7F480BA4
	v_cvt_f32_i32_e32 v165, v165                               // 000000004B64: 7F4A0BA5
	v_cvt_f32_i32_e32 v166, v166                               // 000000004B68: 7F4C0BA6
	v_cvt_f32_i32_e32 v167, v167                               // 000000004B6C: 7F4E0BA7
	v_mul_f32_e32 v164, v23, v164                              // 000000004B70: 0B494917
	v_mul_f32_e32 v165, v23, v165                              // 000000004B74: 0B4B4B17
	v_mul_f32_e32 v166, v23, v166                              // 000000004B78: 0B4D4D17
	v_mul_f32_e32 v167, v23, v167                              // 000000004B7C: 0B4F4F17
	v_mul_f32_dpp v164, v11, v164 row_newbcast:8 row_mask:0xf bank_mask:0xf// 000000004B80: 0B4948FA FF01580B
	v_mul_f32_dpp v165, v11, v165 row_newbcast:9 row_mask:0xf bank_mask:0xf// 000000004B88: 0B4B4AFA FF01590B
	v_mul_f32_dpp v166, v11, v166 row_newbcast:10 row_mask:0xf bank_mask:0xf// 000000004B90: 0B4D4CFA FF015A0B
	v_mul_f32_dpp v167, v11, v167 row_newbcast:11 row_mask:0xf bank_mask:0xf// 000000004B98: 0B4F4EFA FF015B0B
	v_mul_f32_e32 v164, v18, v164                              // 000000004BA0: 0B494912
	v_mul_f32_e32 v165, v18, v165                              // 000000004BA4: 0B4B4B12
	v_mul_f32_e32 v166, v18, v166                              // 000000004BA8: 0B4D4D12
	v_mul_f32_e32 v167, v18, v167                              // 000000004BAC: 0B4F4F12
	v_cvt_f32_i32_e32 v168, v168                               // 000000004BB0: 7F500BA8
	v_cvt_f32_i32_e32 v169, v169                               // 000000004BB4: 7F520BA9
	v_cvt_f32_i32_e32 v170, v170                               // 000000004BB8: 7F540BAA
	v_cvt_f32_i32_e32 v171, v171                               // 000000004BBC: 7F560BAB
	v_mul_f32_e32 v168, v22, v168                              // 000000004BC0: 0B515116
	v_mul_f32_e32 v169, v22, v169                              // 000000004BC4: 0B535316
	v_mul_f32_e32 v170, v22, v170                              // 000000004BC8: 0B555516
	v_mul_f32_e32 v171, v22, v171                              // 000000004BCC: 0B575716
	v_mul_f32_dpp v168, v11, v168 row_newbcast:12 row_mask:0xf bank_mask:0xf// 000000004BD0: 0B5150FA FF015C0B
	v_mul_f32_dpp v169, v11, v169 row_newbcast:13 row_mask:0xf bank_mask:0xf// 000000004BD8: 0B5352FA FF015D0B
	v_mul_f32_dpp v170, v11, v170 row_newbcast:14 row_mask:0xf bank_mask:0xf// 000000004BE0: 0B5554FA FF015E0B
	v_mul_f32_dpp v171, v11, v171 row_newbcast:15 row_mask:0xf bank_mask:0xf// 000000004BE8: 0B5756FA FF015F0B
	v_mul_f32_e32 v168, v17, v168                              // 000000004BF0: 0B515111
	v_mul_f32_e32 v169, v17, v169                              // 000000004BF4: 0B535311
	v_mul_f32_e32 v170, v17, v170                              // 000000004BF8: 0B555511
	v_mul_f32_e32 v171, v17, v171                              // 000000004BFC: 0B575711
	v_cvt_f32_i32_e32 v172, v172                               // 000000004C00: 7F580BAC
	v_cvt_f32_i32_e32 v173, v173                               // 000000004C04: 7F5A0BAD
	v_cvt_f32_i32_e32 v174, v174                               // 000000004C08: 7F5C0BAE
	v_cvt_f32_i32_e32 v175, v175                               // 000000004C0C: 7F5E0BAF
	v_mul_f32_e32 v172, v23, v172                              // 000000004C10: 0B595917
	v_mul_f32_e32 v173, v23, v173                              // 000000004C14: 0B5B5B17
	v_mul_f32_e32 v174, v23, v174                              // 000000004C18: 0B5D5D17
	v_mul_f32_e32 v175, v23, v175                              // 000000004C1C: 0B5F5F17
	v_mul_f32_dpp v172, v11, v172 row_newbcast:12 row_mask:0xf bank_mask:0xf// 000000004C20: 0B5958FA FF015C0B
	v_mul_f32_dpp v173, v11, v173 row_newbcast:13 row_mask:0xf bank_mask:0xf// 000000004C28: 0B5B5AFA FF015D0B
	v_mul_f32_dpp v174, v11, v174 row_newbcast:14 row_mask:0xf bank_mask:0xf// 000000004C30: 0B5D5CFA FF015E0B
	v_mul_f32_dpp v175, v11, v175 row_newbcast:15 row_mask:0xf bank_mask:0xf// 000000004C38: 0B5F5EFA FF015F0B
	v_mul_f32_e32 v172, v18, v172                              // 000000004C40: 0B595912
	v_mul_f32_e32 v173, v18, v173                              // 000000004C44: 0B5B5B12
	v_mul_f32_e32 v174, v18, v174                              // 000000004C48: 0B5D5D12
	v_mul_f32_e32 v175, v18, v175                              // 000000004C4C: 0B5F5F12
	v_cmp_u_f32_e64 s[48:49], v144, v144                       // 000000004C50: D0480030 00032190
	v_add3_u32 v38, v144, v41, 1                               // 000000004C58: D1FF0026 02065390
	v_cndmask_b32_e64 v44, v38, v40, s[48:49]                  // 000000004C60: D100002C 00C25126
	v_cmp_u_f32_e64 s[48:49], v145, v145                       // 000000004C68: D0480030 00032391
	v_add3_u32 v38, v145, v41, 1                               // 000000004C70: D1FF0026 02065391
	v_cndmask_b32_e64 v45, v38, v40, s[48:49]                  // 000000004C78: D100002D 00C25126
	v_perm_b32 v144, v45, v44, s52                             // 000000004C80: D1ED0090 00D2592D
	v_cmp_u_f32_e64 s[48:49], v146, v146                       // 000000004C88: D0480030 00032592
	v_add3_u32 v38, v146, v41, 1                               // 000000004C90: D1FF0026 02065392
	v_cndmask_b32_e64 v44, v38, v40, s[48:49]                  // 000000004C98: D100002C 00C25126
	v_cmp_u_f32_e64 s[48:49], v147, v147                       // 000000004CA0: D0480030 00032793
	v_add3_u32 v38, v147, v41, 1                               // 000000004CA8: D1FF0026 02065393
	v_cndmask_b32_e64 v45, v38, v40, s[48:49]                  // 000000004CB0: D100002D 00C25126
	v_perm_b32 v145, v45, v44, s52                             // 000000004CB8: D1ED0091 00D2592D
	v_cmp_u_f32_e64 s[48:49], v148, v148                       // 000000004CC0: D0480030 00032994
	v_add3_u32 v38, v148, v41, 1                               // 000000004CC8: D1FF0026 02065394
	v_cndmask_b32_e64 v44, v38, v40, s[48:49]                  // 000000004CD0: D100002C 00C25126
	v_cmp_u_f32_e64 s[48:49], v149, v149                       // 000000004CD8: D0480030 00032B95
	v_add3_u32 v38, v149, v41, 1                               // 000000004CE0: D1FF0026 02065395
	v_cndmask_b32_e64 v45, v38, v40, s[48:49]                  // 000000004CE8: D100002D 00C25126
	v_perm_b32 v146, v45, v44, s52                             // 000000004CF0: D1ED0092 00D2592D
	v_cmp_u_f32_e64 s[48:49], v150, v150                       // 000000004CF8: D0480030 00032D96
	v_add3_u32 v38, v150, v41, 1                               // 000000004D00: D1FF0026 02065396
	v_cndmask_b32_e64 v44, v38, v40, s[48:49]                  // 000000004D08: D100002C 00C25126
	v_cmp_u_f32_e64 s[48:49], v151, v151                       // 000000004D10: D0480030 00032F97
	v_add3_u32 v38, v151, v41, 1                               // 000000004D18: D1FF0026 02065397
	v_cndmask_b32_e64 v45, v38, v40, s[48:49]                  // 000000004D20: D100002D 00C25126
	v_perm_b32 v147, v45, v44, s52                             // 000000004D28: D1ED0093 00D2592D
	v_cmp_u_f32_e64 s[48:49], v152, v152                       // 000000004D30: D0480030 00033198
	v_add3_u32 v38, v152, v41, 1                               // 000000004D38: D1FF0026 02065398
	v_cndmask_b32_e64 v44, v38, v40, s[48:49]                  // 000000004D40: D100002C 00C25126
	v_cmp_u_f32_e64 s[48:49], v153, v153                       // 000000004D48: D0480030 00033399
	v_add3_u32 v38, v153, v41, 1                               // 000000004D50: D1FF0026 02065399
	v_cndmask_b32_e64 v45, v38, v40, s[48:49]                  // 000000004D58: D100002D 00C25126
	v_perm_b32 v148, v45, v44, s52                             // 000000004D60: D1ED0094 00D2592D
	v_cmp_u_f32_e64 s[48:49], v154, v154                       // 000000004D68: D0480030 0003359A
	v_add3_u32 v38, v154, v41, 1                               // 000000004D70: D1FF0026 0206539A
	v_cndmask_b32_e64 v44, v38, v40, s[48:49]                  // 000000004D78: D100002C 00C25126
	v_cmp_u_f32_e64 s[48:49], v155, v155                       // 000000004D80: D0480030 0003379B
	v_add3_u32 v38, v155, v41, 1                               // 000000004D88: D1FF0026 0206539B
	v_cndmask_b32_e64 v45, v38, v40, s[48:49]                  // 000000004D90: D100002D 00C25126
	v_perm_b32 v149, v45, v44, s52                             // 000000004D98: D1ED0095 00D2592D
	v_cmp_u_f32_e64 s[48:49], v156, v156                       // 000000004DA0: D0480030 0003399C
	v_add3_u32 v38, v156, v41, 1                               // 000000004DA8: D1FF0026 0206539C
	v_cndmask_b32_e64 v44, v38, v40, s[48:49]                  // 000000004DB0: D100002C 00C25126
	v_cmp_u_f32_e64 s[48:49], v157, v157                       // 000000004DB8: D0480030 00033B9D
	v_add3_u32 v38, v157, v41, 1                               // 000000004DC0: D1FF0026 0206539D
	v_cndmask_b32_e64 v45, v38, v40, s[48:49]                  // 000000004DC8: D100002D 00C25126
	v_perm_b32 v150, v45, v44, s52                             // 000000004DD0: D1ED0096 00D2592D
	v_cmp_u_f32_e64 s[48:49], v158, v158                       // 000000004DD8: D0480030 00033D9E
	v_add3_u32 v38, v158, v41, 1                               // 000000004DE0: D1FF0026 0206539E
	v_cndmask_b32_e64 v44, v38, v40, s[48:49]                  // 000000004DE8: D100002C 00C25126
	v_cmp_u_f32_e64 s[48:49], v159, v159                       // 000000004DF0: D0480030 00033F9F
	v_add3_u32 v38, v159, v41, 1                               // 000000004DF8: D1FF0026 0206539F
	v_cndmask_b32_e64 v45, v38, v40, s[48:49]                  // 000000004E00: D100002D 00C25126
	v_perm_b32 v151, v45, v44, s52                             // 000000004E08: D1ED0097 00D2592D
	v_cmp_u_f32_e64 s[48:49], v160, v160                       // 000000004E10: D0480030 000341A0
	v_add3_u32 v38, v160, v41, 1                               // 000000004E18: D1FF0026 020653A0
	v_cndmask_b32_e64 v44, v38, v40, s[48:49]                  // 000000004E20: D100002C 00C25126
	v_cmp_u_f32_e64 s[48:49], v161, v161                       // 000000004E28: D0480030 000343A1
	v_add3_u32 v38, v161, v41, 1                               // 000000004E30: D1FF0026 020653A1
	v_cndmask_b32_e64 v45, v38, v40, s[48:49]                  // 000000004E38: D100002D 00C25126
	v_perm_b32 v152, v45, v44, s52                             // 000000004E40: D1ED0098 00D2592D
	v_cmp_u_f32_e64 s[48:49], v162, v162                       // 000000004E48: D0480030 000345A2
	v_add3_u32 v38, v162, v41, 1                               // 000000004E50: D1FF0026 020653A2
	v_cndmask_b32_e64 v44, v38, v40, s[48:49]                  // 000000004E58: D100002C 00C25126
	v_cmp_u_f32_e64 s[48:49], v163, v163                       // 000000004E60: D0480030 000347A3
	v_add3_u32 v38, v163, v41, 1                               // 000000004E68: D1FF0026 020653A3
	v_cndmask_b32_e64 v45, v38, v40, s[48:49]                  // 000000004E70: D100002D 00C25126
	v_perm_b32 v153, v45, v44, s52                             // 000000004E78: D1ED0099 00D2592D
	v_cmp_u_f32_e64 s[48:49], v164, v164                       // 000000004E80: D0480030 000349A4
	v_add3_u32 v38, v164, v41, 1                               // 000000004E88: D1FF0026 020653A4
	v_cndmask_b32_e64 v44, v38, v40, s[48:49]                  // 000000004E90: D100002C 00C25126
	v_cmp_u_f32_e64 s[48:49], v165, v165                       // 000000004E98: D0480030 00034BA5
	v_add3_u32 v38, v165, v41, 1                               // 000000004EA0: D1FF0026 020653A5
	v_cndmask_b32_e64 v45, v38, v40, s[48:49]                  // 000000004EA8: D100002D 00C25126
	v_perm_b32 v154, v45, v44, s52                             // 000000004EB0: D1ED009A 00D2592D
	v_cmp_u_f32_e64 s[48:49], v166, v166                       // 000000004EB8: D0480030 00034DA6
	v_add3_u32 v38, v166, v41, 1                               // 000000004EC0: D1FF0026 020653A6
	v_cndmask_b32_e64 v44, v38, v40, s[48:49]                  // 000000004EC8: D100002C 00C25126
	v_cmp_u_f32_e64 s[48:49], v167, v167                       // 000000004ED0: D0480030 00034FA7
	v_add3_u32 v38, v167, v41, 1                               // 000000004ED8: D1FF0026 020653A7
	v_cndmask_b32_e64 v45, v38, v40, s[48:49]                  // 000000004EE0: D100002D 00C25126
	v_perm_b32 v155, v45, v44, s52                             // 000000004EE8: D1ED009B 00D2592D
	v_cmp_u_f32_e64 s[48:49], v168, v168                       // 000000004EF0: D0480030 000351A8
	v_add3_u32 v38, v168, v41, 1                               // 000000004EF8: D1FF0026 020653A8
	v_cndmask_b32_e64 v44, v38, v40, s[48:49]                  // 000000004F00: D100002C 00C25126
	v_cmp_u_f32_e64 s[48:49], v169, v169                       // 000000004F08: D0480030 000353A9
	v_add3_u32 v38, v169, v41, 1                               // 000000004F10: D1FF0026 020653A9
	v_cndmask_b32_e64 v45, v38, v40, s[48:49]                  // 000000004F18: D100002D 00C25126
	v_perm_b32 v156, v45, v44, s52                             // 000000004F20: D1ED009C 00D2592D
	v_cmp_u_f32_e64 s[48:49], v170, v170                       // 000000004F28: D0480030 000355AA
	v_add3_u32 v38, v170, v41, 1                               // 000000004F30: D1FF0026 020653AA
	v_cndmask_b32_e64 v44, v38, v40, s[48:49]                  // 000000004F38: D100002C 00C25126
	v_cmp_u_f32_e64 s[48:49], v171, v171                       // 000000004F40: D0480030 000357AB
	v_add3_u32 v38, v171, v41, 1                               // 000000004F48: D1FF0026 020653AB
	v_cndmask_b32_e64 v45, v38, v40, s[48:49]                  // 000000004F50: D100002D 00C25126
	v_perm_b32 v157, v45, v44, s52                             // 000000004F58: D1ED009D 00D2592D
	v_cmp_u_f32_e64 s[48:49], v172, v172                       // 000000004F60: D0480030 000359AC
	v_add3_u32 v38, v172, v41, 1                               // 000000004F68: D1FF0026 020653AC
	v_cndmask_b32_e64 v44, v38, v40, s[48:49]                  // 000000004F70: D100002C 00C25126
	v_cmp_u_f32_e64 s[48:49], v173, v173                       // 000000004F78: D0480030 00035BAD
	v_add3_u32 v38, v173, v41, 1                               // 000000004F80: D1FF0026 020653AD
	v_cndmask_b32_e64 v45, v38, v40, s[48:49]                  // 000000004F88: D100002D 00C25126
	v_perm_b32 v158, v45, v44, s52                             // 000000004F90: D1ED009E 00D2592D
	v_cmp_u_f32_e64 s[48:49], v174, v174                       // 000000004F98: D0480030 00035DAE
	v_add3_u32 v38, v174, v41, 1                               // 000000004FA0: D1FF0026 020653AE
	v_cndmask_b32_e64 v44, v38, v40, s[48:49]                  // 000000004FA8: D100002C 00C25126
	v_cmp_u_f32_e64 s[48:49], v175, v175                       // 000000004FB0: D0480030 00035FAF
	v_add3_u32 v38, v175, v41, 1                               // 000000004FB8: D1FF0026 020653AF
	v_cndmask_b32_e64 v45, v38, v40, s[48:49]                  // 000000004FC0: D100002D 00C25126
	v_perm_b32 v159, v45, v44, s52                             // 000000004FC8: D1ED009F 00D2592D
	ds_write_b64 v3, v[144:145] offset:22784                   // 000000004FD0: D89A5900 00009003
	ds_write_b64 v3, v[146:147] offset:31488                   // 000000004FD8: D89A7B00 00009203
	ds_write_b64 v3, v[148:149] offset:24960                   // 000000004FE0: D89A6180 00009403
	ds_write_b64 v3, v[150:151] offset:33664                   // 000000004FE8: D89A8380 00009603
	ds_write_b64 v3, v[152:153] offset:27136                   // 000000004FF0: D89A6A00 00009803
	ds_write_b64 v3, v[154:155] offset:35840                   // 000000004FF8: D89A8C00 00009A03
	ds_write_b64 v3, v[156:157] offset:29312                   // 000000005000: D89A7280 00009C03
	ds_write_b64 v3, v[158:159] offset:38016                   // 000000005008: D89A9480 00009E03
	s_waitcnt lgkmcnt(0)                                       // 000000005010: BF8CC07F
	s_barrier                                                  // 000000005014: BF8A0000
	ds_read_b32 v64, v4 offset:22784                           // 000000005018: D86C5900 40000004
	ds_read_b32 v65, v4 offset:27136                           // 000000005020: D86C6A00 41000004
	ds_read_b32 v66, v4 offset:22816                           // 000000005028: D86C5920 42000004
	ds_read_b32 v67, v4 offset:27168                           // 000000005030: D86C6A20 43000004
	ds_read_b32 v68, v4 offset:22848                           // 000000005038: D86C5940 44000004
	ds_read_b32 v69, v4 offset:27200                           // 000000005040: D86C6A40 45000004
	ds_read_b32 v70, v4 offset:22880                           // 000000005048: D86C5960 46000004
	ds_read_b32 v71, v4 offset:27232                           // 000000005050: D86C6A60 47000004
	ds_read_b32 v72, v4 offset:31488                           // 000000005058: D86C7B00 48000004
	ds_read_b32 v73, v4 offset:35840                           // 000000005060: D86C8C00 49000004
	ds_read_b32 v74, v4 offset:31520                           // 000000005068: D86C7B20 4A000004
	ds_read_b32 v75, v4 offset:35872                           // 000000005070: D86C8C20 4B000004
	ds_read_b32 v76, v4 offset:31552                           // 000000005078: D86C7B40 4C000004
	ds_read_b32 v77, v4 offset:35904                           // 000000005080: D86C8C40 4D000004
	ds_read_b32 v78, v4 offset:31584                           // 000000005088: D86C7B60 4E000004
	ds_read_b32 v79, v4 offset:35936                           // 000000005090: D86C8C60 4F000004
	s_waitcnt lgkmcnt(0)                                       // 000000005098: BF8CC07F
	s_mov_b64 exec, s[20:21]                                   // 00000000509C: BEFE0114
	global_atomic_pk_add_bf16 v80, v64, s[8:9]                 // 0000000050A0: DD488000 00084050
	s_mov_b64 exec, s[36:37]                                   // 0000000050A8: BEFE0124
	s_mov_b64 exec, s[20:21]                                   // 0000000050AC: BEFE0114
	global_atomic_pk_add_bf16 v80, v65, s[8:9] offset:256      // 0000000050B0: DD488100 00084150
	s_mov_b64 exec, s[36:37]                                   // 0000000050B8: BEFE0124
	s_mov_b64 exec, s[22:23]                                   // 0000000050BC: BEFE0116
	global_atomic_pk_add_bf16 v82, v66, s[8:9]                 // 0000000050C0: DD488000 00084252
	s_mov_b64 exec, s[36:37]                                   // 0000000050C8: BEFE0124
	s_mov_b64 exec, s[22:23]                                   // 0000000050CC: BEFE0116
	global_atomic_pk_add_bf16 v82, v67, s[8:9] offset:256      // 0000000050D0: DD488100 00084352
	s_mov_b64 exec, s[36:37]                                   // 0000000050D8: BEFE0124
	s_mov_b64 exec, s[24:25]                                   // 0000000050DC: BEFE0118
	global_atomic_pk_add_bf16 v84, v68, s[8:9]                 // 0000000050E0: DD488000 00084454
	s_mov_b64 exec, s[36:37]                                   // 0000000050E8: BEFE0124
	s_mov_b64 exec, s[24:25]                                   // 0000000050EC: BEFE0118
	global_atomic_pk_add_bf16 v84, v69, s[8:9] offset:256      // 0000000050F0: DD488100 00084554
	s_mov_b64 exec, s[36:37]                                   // 0000000050F8: BEFE0124
	s_mov_b64 exec, s[26:27]                                   // 0000000050FC: BEFE011A
	global_atomic_pk_add_bf16 v86, v70, s[8:9]                 // 000000005100: DD488000 00084656
	s_mov_b64 exec, s[36:37]                                   // 000000005108: BEFE0124
	s_mov_b64 exec, s[26:27]                                   // 00000000510C: BEFE011A
	global_atomic_pk_add_bf16 v86, v71, s[8:9] offset:256      // 000000005110: DD488100 00084756
	s_mov_b64 exec, s[36:37]                                   // 000000005118: BEFE0124
	s_mov_b64 exec, s[28:29]                                   // 00000000511C: BEFE011C
	global_atomic_pk_add_bf16 v88, v72, s[8:9]                 // 000000005120: DD488000 00084858
	s_mov_b64 exec, s[36:37]                                   // 000000005128: BEFE0124
	s_mov_b64 exec, s[28:29]                                   // 00000000512C: BEFE011C
	global_atomic_pk_add_bf16 v88, v73, s[8:9] offset:256      // 000000005130: DD488100 00084958
	s_mov_b64 exec, s[36:37]                                   // 000000005138: BEFE0124
	s_mov_b64 exec, s[30:31]                                   // 00000000513C: BEFE011E
	global_atomic_pk_add_bf16 v90, v74, s[8:9]                 // 000000005140: DD488000 00084A5A
	s_mov_b64 exec, s[36:37]                                   // 000000005148: BEFE0124
	s_mov_b64 exec, s[30:31]                                   // 00000000514C: BEFE011E
	global_atomic_pk_add_bf16 v90, v75, s[8:9] offset:256      // 000000005150: DD488100 00084B5A
	s_mov_b64 exec, s[36:37]                                   // 000000005158: BEFE0124
	s_mov_b64 exec, s[32:33]                                   // 00000000515C: BEFE0120
	global_atomic_pk_add_bf16 v92, v76, s[8:9]                 // 000000005160: DD488000 00084C5C
	s_mov_b64 exec, s[36:37]                                   // 000000005168: BEFE0124
	s_mov_b64 exec, s[32:33]                                   // 00000000516C: BEFE0120
	global_atomic_pk_add_bf16 v92, v77, s[8:9] offset:256      // 000000005170: DD488100 00084D5C
	s_mov_b64 exec, s[36:37]                                   // 000000005178: BEFE0124
	s_mov_b64 exec, s[34:35]                                   // 00000000517C: BEFE0122
	global_atomic_pk_add_bf16 v94, v78, s[8:9]                 // 000000005180: DD488000 00084E5E
	s_mov_b64 exec, s[36:37]                                   // 000000005188: BEFE0124
	s_mov_b64 exec, s[34:35]                                   // 00000000518C: BEFE0122
	global_atomic_pk_add_bf16 v94, v79, s[8:9] offset:256      // 000000005190: DD488100 00084F5E
	s_mov_b64 exec, s[36:37]                                   // 000000005198: BEFE0124
	s_add_u32 s8, s59, s8                                      // 00000000519C: 8008083B
	s_addc_u32 s9, 0, s9                                       // 0000000051A0: 82090980
	s_addk_i32 s80, 0x100                                      // 0000000051A4: B7500100
	s_cmp_lt_i32 s80, s81                                      // 0000000051A8: BF045150
	s_cbranch_scc0 label_0B46                                  // 0000000051AC: BF84025A
	s_waitcnt vmcnt(21)                                        // 0000000051B0: BF8C4F75
	s_barrier                                                  // 0000000051B4: BF8A0000
	v_mfma_i32_16x16x32_i8 v[176:179], a[32:33], v[128:129], 0 // 0000000051B8: D3D700B0 0A030120
	v_mfma_i32_16x16x32_i8 v[176:179], a[34:35], v[130:131], v[176:179]// 0000000051C0: D3D700B0 0EC30522
	buffer_load_dwordx4 a[0:3], v34, s[12:15], 0 offen         // 0000000051C8: E05C1000 80830022
	v_mfma_i32_16x16x32_i8 v[180:183], a[32:33], v[136:137], 0 // 0000000051D0: D3D700B4 0A031120
	v_mfma_i32_16x16x32_i8 v[180:183], a[34:35], v[138:139], v[180:183]// 0000000051D8: D3D700B4 0ED31522
	v_mfma_i32_16x16x32_i8 v[184:187], a[36:37], v[128:129], 0 // 0000000051E0: D3D700B8 0A030124
	v_mfma_i32_16x16x32_i8 v[184:187], a[38:39], v[130:131], v[184:187]// 0000000051E8: D3D700B8 0EE30526
	buffer_load_dwordx4 a[4:7], v35, s[12:15], 0 offen         // 0000000051F0: E05C1000 80830423
	v_mfma_i32_16x16x32_i8 v[188:191], a[36:37], v[136:137], 0 // 0000000051F8: D3D700BC 0A031124
	v_mfma_i32_16x16x32_i8 v[188:191], a[38:39], v[138:139], v[188:191]// 000000005200: D3D700BC 0EF31526
	v_mfma_i32_16x16x32_i8 v[192:195], a[40:41], v[128:129], 0 // 000000005208: D3D700C0 0A030128
	v_mfma_i32_16x16x32_i8 v[192:195], a[42:43], v[130:131], v[192:195]// 000000005210: D3D700C0 0F03052A
	buffer_load_dwordx4 a[8:11], v36, s[12:15], 0 offen        // 000000005218: E05C1000 80830824
	v_mfma_i32_16x16x32_i8 v[196:199], a[40:41], v[136:137], 0 // 000000005220: D3D700C4 0A031128
	v_mfma_i32_16x16x32_i8 v[196:199], a[42:43], v[138:139], v[196:199]// 000000005228: D3D700C4 0F13152A
	v_mfma_i32_16x16x32_i8 v[200:203], a[44:45], v[128:129], 0 // 000000005230: D3D700C8 0A03012C
	v_mfma_i32_16x16x32_i8 v[200:203], a[46:47], v[130:131], v[200:203]// 000000005238: D3D700C8 0F23052E
	buffer_load_dwordx4 a[12:15], v37, s[12:15], 0 offen       // 000000005240: E05C1000 80830C25
	s_add_u32 s12, s78, s12                                    // 000000005248: 800C0C4E
	s_addc_u32 s13, 0, s13                                     // 00000000524C: 820D0D80
	v_mfma_i32_16x16x32_i8 v[204:207], a[44:45], v[136:137], 0 // 000000005250: D3D700CC 0A03112C
	v_mfma_i32_16x16x32_i8 v[204:207], a[46:47], v[138:139], v[204:207]// 000000005258: D3D700CC 0F33152E
	s_waitcnt vmcnt(20)                                        // 000000005260: BF8C4F74
	v_mfma_i32_16x16x32_i8 v[176:179], a[48:49], v[132:133], v[176:179]// 000000005264: D3D700B0 0EC30930
	v_mfma_i32_16x16x32_i8 v[176:179], a[50:51], v[134:135], v[176:179]// 00000000526C: D3D700B0 0EC30D32
	buffer_load_dwordx4 a[16:19], v34, s[12:15], 0 offen       // 000000005274: E05C1000 80831022
	v_mfma_i32_16x16x32_i8 v[180:183], a[48:49], v[140:141], v[180:183]// 00000000527C: D3D700B4 0ED31930
	v_mfma_i32_16x16x32_i8 v[180:183], a[50:51], v[142:143], v[180:183]// 000000005284: D3D700B4 0ED31D32
	buffer_load_dword v11, v5, s[16:19], 0 offen               // 00000000528C: E0501000 80040B05
	v_mfma_i32_16x16x32_i8 v[184:187], a[52:53], v[132:133], v[184:187]// 000000005294: D3D700B8 0EE30934
	v_mfma_i32_16x16x32_i8 v[184:187], a[54:55], v[134:135], v[184:187]// 00000000529C: D3D700B8 0EE30D36
	buffer_load_dwordx4 a[20:23], v35, s[12:15], 0 offen       // 0000000052A4: E05C1000 80831423
	v_mfma_i32_16x16x32_i8 v[188:191], a[52:53], v[140:141], v[188:191]// 0000000052AC: D3D700BC 0EF31934
	v_mfma_i32_16x16x32_i8 v[188:191], a[54:55], v[142:143], v[188:191]// 0000000052B4: D3D700BC 0EF31D36
	v_mfma_i32_16x16x32_i8 v[192:195], a[56:57], v[132:133], v[192:195]// 0000000052BC: D3D700C0 0F030938
	v_mfma_i32_16x16x32_i8 v[192:195], a[58:59], v[134:135], v[192:195]// 0000000052C4: D3D700C0 0F030D3A
	buffer_load_dwordx4 a[24:27], v36, s[12:15], 0 offen       // 0000000052CC: E05C1000 80831824
	v_mfma_i32_16x16x32_i8 v[196:199], a[56:57], v[140:141], v[196:199]// 0000000052D4: D3D700C4 0F131938
	v_mfma_i32_16x16x32_i8 v[196:199], a[58:59], v[142:143], v[196:199]// 0000000052DC: D3D700C4 0F131D3A
	v_mfma_i32_16x16x32_i8 v[200:203], a[60:61], v[132:133], v[200:203]// 0000000052E4: D3D700C8 0F23093C
	v_mfma_i32_16x16x32_i8 v[200:203], a[62:63], v[134:135], v[200:203]// 0000000052EC: D3D700C8 0F230D3E
	buffer_load_dwordx4 a[28:31], v37, s[12:15], 0 offen       // 0000000052F4: E05C1000 80831C25
	v_mfma_i32_16x16x32_i8 v[204:207], a[60:61], v[140:141], v[204:207]// 0000000052FC: D3D700CC 0F33193C
	v_mfma_i32_16x16x32_i8 v[204:207], a[62:63], v[142:143], v[204:207]// 000000005304: D3D700CC 0F331D3E
	s_add_u32 s60, 0x200, s80                                  // 00000000530C: 803C50FF 00000200
	s_cmp_lt_u32 s60, s81                                      // 000000005314: BF0A513C
	s_cselect_b32 s56, s56, 0                                  // 000000005318: 85388038
	s_cselect_b32 s78, s78, 0                                  // 00000000531C: 854E804E
	s_cselect_b32 s79, s79, 0                                  // 000000005320: 854F804F
	s_add_u32 s12, s56, s12                                    // 000000005324: 800C0C38
	s_addc_u32 s13, 0, s13                                     // 000000005328: 820D0D80
	s_add_u32 s16, s79, s16                                    // 00000000532C: 8010104F
	s_addc_u32 s17, 0, s17                                     // 000000005330: 82111180
	v_cvt_f32_i32_e32 v176, v176                               // 000000005334: 7F600BB0
	v_cvt_f32_i32_e32 v177, v177                               // 000000005338: 7F620BB1
	v_cvt_f32_i32_e32 v178, v178                               // 00000000533C: 7F640BB2
	v_cvt_f32_i32_e32 v179, v179                               // 000000005340: 7F660BB3
	v_mul_f32_e32 v176, v22, v176                              // 000000005344: 0B616116
	v_mul_f32_e32 v177, v22, v177                              // 000000005348: 0B636316
	v_mul_f32_e32 v178, v22, v178                              // 00000000534C: 0B656516
	v_mul_f32_e32 v179, v22, v179                              // 000000005350: 0B676716
	v_mul_f32_dpp v176, v12, v176 row_newbcast:0 row_mask:0xf bank_mask:0xf// 000000005354: 0B6160FA FF01500C
	v_mul_f32_dpp v177, v12, v177 row_newbcast:1 row_mask:0xf bank_mask:0xf// 00000000535C: 0B6362FA FF01510C
	v_mul_f32_dpp v178, v12, v178 row_newbcast:2 row_mask:0xf bank_mask:0xf// 000000005364: 0B6564FA FF01520C
	v_mul_f32_dpp v179, v12, v179 row_newbcast:3 row_mask:0xf bank_mask:0xf// 00000000536C: 0B6766FA FF01530C
	v_mul_f32_e32 v176, v17, v176                              // 000000005374: 0B616111
	v_mul_f32_e32 v177, v17, v177                              // 000000005378: 0B636311
	v_mul_f32_e32 v178, v17, v178                              // 00000000537C: 0B656511
	v_mul_f32_e32 v179, v17, v179                              // 000000005380: 0B676711
	v_cvt_f32_i32_e32 v180, v180                               // 000000005384: 7F680BB4
	v_cvt_f32_i32_e32 v181, v181                               // 000000005388: 7F6A0BB5
	v_cvt_f32_i32_e32 v182, v182                               // 00000000538C: 7F6C0BB6
	v_cvt_f32_i32_e32 v183, v183                               // 000000005390: 7F6E0BB7
	v_mul_f32_e32 v180, v23, v180                              // 000000005394: 0B696917
	v_mul_f32_e32 v181, v23, v181                              // 000000005398: 0B6B6B17
	v_mul_f32_e32 v182, v23, v182                              // 00000000539C: 0B6D6D17
	v_mul_f32_e32 v183, v23, v183                              // 0000000053A0: 0B6F6F17
	v_mul_f32_dpp v180, v12, v180 row_newbcast:0 row_mask:0xf bank_mask:0xf// 0000000053A4: 0B6968FA FF01500C
	v_mul_f32_dpp v181, v12, v181 row_newbcast:1 row_mask:0xf bank_mask:0xf// 0000000053AC: 0B6B6AFA FF01510C
	v_mul_f32_dpp v182, v12, v182 row_newbcast:2 row_mask:0xf bank_mask:0xf// 0000000053B4: 0B6D6CFA FF01520C
	v_mul_f32_dpp v183, v12, v183 row_newbcast:3 row_mask:0xf bank_mask:0xf// 0000000053BC: 0B6F6EFA FF01530C
	v_mul_f32_e32 v180, v18, v180                              // 0000000053C4: 0B696912
	v_mul_f32_e32 v181, v18, v181                              // 0000000053C8: 0B6B6B12
	v_mul_f32_e32 v182, v18, v182                              // 0000000053CC: 0B6D6D12
	v_mul_f32_e32 v183, v18, v183                              // 0000000053D0: 0B6F6F12
	v_cvt_f32_i32_e32 v184, v184                               // 0000000053D4: 7F700BB8
	v_cvt_f32_i32_e32 v185, v185                               // 0000000053D8: 7F720BB9
	v_cvt_f32_i32_e32 v186, v186                               // 0000000053DC: 7F740BBA
	v_cvt_f32_i32_e32 v187, v187                               // 0000000053E0: 7F760BBB
	v_mul_f32_e32 v184, v22, v184                              // 0000000053E4: 0B717116
	v_mul_f32_e32 v185, v22, v185                              // 0000000053E8: 0B737316
	v_mul_f32_e32 v186, v22, v186                              // 0000000053EC: 0B757516
	v_mul_f32_e32 v187, v22, v187                              // 0000000053F0: 0B777716
	v_mul_f32_dpp v184, v12, v184 row_newbcast:4 row_mask:0xf bank_mask:0xf// 0000000053F4: 0B7170FA FF01540C
	v_mul_f32_dpp v185, v12, v185 row_newbcast:5 row_mask:0xf bank_mask:0xf// 0000000053FC: 0B7372FA FF01550C
	v_mul_f32_dpp v186, v12, v186 row_newbcast:6 row_mask:0xf bank_mask:0xf// 000000005404: 0B7574FA FF01560C
	v_mul_f32_dpp v187, v12, v187 row_newbcast:7 row_mask:0xf bank_mask:0xf// 00000000540C: 0B7776FA FF01570C
	v_mul_f32_e32 v184, v17, v184                              // 000000005414: 0B717111
	v_mul_f32_e32 v185, v17, v185                              // 000000005418: 0B737311
	v_mul_f32_e32 v186, v17, v186                              // 00000000541C: 0B757511
	v_mul_f32_e32 v187, v17, v187                              // 000000005420: 0B777711
	v_cvt_f32_i32_e32 v188, v188                               // 000000005424: 7F780BBC
	v_cvt_f32_i32_e32 v189, v189                               // 000000005428: 7F7A0BBD
	v_cvt_f32_i32_e32 v190, v190                               // 00000000542C: 7F7C0BBE
	v_cvt_f32_i32_e32 v191, v191                               // 000000005430: 7F7E0BBF
	v_mul_f32_e32 v188, v23, v188                              // 000000005434: 0B797917
	v_mul_f32_e32 v189, v23, v189                              // 000000005438: 0B7B7B17
	v_mul_f32_e32 v190, v23, v190                              // 00000000543C: 0B7D7D17
	v_mul_f32_e32 v191, v23, v191                              // 000000005440: 0B7F7F17
	v_mul_f32_dpp v188, v12, v188 row_newbcast:4 row_mask:0xf bank_mask:0xf// 000000005444: 0B7978FA FF01540C
	v_mul_f32_dpp v189, v12, v189 row_newbcast:5 row_mask:0xf bank_mask:0xf// 00000000544C: 0B7B7AFA FF01550C
	v_mul_f32_dpp v190, v12, v190 row_newbcast:6 row_mask:0xf bank_mask:0xf// 000000005454: 0B7D7CFA FF01560C
	v_mul_f32_dpp v191, v12, v191 row_newbcast:7 row_mask:0xf bank_mask:0xf// 00000000545C: 0B7F7EFA FF01570C
	v_mul_f32_e32 v188, v18, v188                              // 000000005464: 0B797912
	v_mul_f32_e32 v189, v18, v189                              // 000000005468: 0B7B7B12
	v_mul_f32_e32 v190, v18, v190                              // 00000000546C: 0B7D7D12
	v_mul_f32_e32 v191, v18, v191                              // 000000005470: 0B7F7F12
	v_cvt_f32_i32_e32 v192, v192                               // 000000005474: 7F800BC0
	v_cvt_f32_i32_e32 v193, v193                               // 000000005478: 7F820BC1
	v_cvt_f32_i32_e32 v194, v194                               // 00000000547C: 7F840BC2
	v_cvt_f32_i32_e32 v195, v195                               // 000000005480: 7F860BC3
	v_mul_f32_e32 v192, v22, v192                              // 000000005484: 0B818116
	v_mul_f32_e32 v193, v22, v193                              // 000000005488: 0B838316
	v_mul_f32_e32 v194, v22, v194                              // 00000000548C: 0B858516
	v_mul_f32_e32 v195, v22, v195                              // 000000005490: 0B878716
	v_mul_f32_dpp v192, v12, v192 row_newbcast:8 row_mask:0xf bank_mask:0xf// 000000005494: 0B8180FA FF01580C
	v_mul_f32_dpp v193, v12, v193 row_newbcast:9 row_mask:0xf bank_mask:0xf// 00000000549C: 0B8382FA FF01590C
	v_mul_f32_dpp v194, v12, v194 row_newbcast:10 row_mask:0xf bank_mask:0xf// 0000000054A4: 0B8584FA FF015A0C
	v_mul_f32_dpp v195, v12, v195 row_newbcast:11 row_mask:0xf bank_mask:0xf// 0000000054AC: 0B8786FA FF015B0C
	v_mul_f32_e32 v192, v17, v192                              // 0000000054B4: 0B818111
	v_mul_f32_e32 v193, v17, v193                              // 0000000054B8: 0B838311
	v_mul_f32_e32 v194, v17, v194                              // 0000000054BC: 0B858511
	v_mul_f32_e32 v195, v17, v195                              // 0000000054C0: 0B878711
	v_cvt_f32_i32_e32 v196, v196                               // 0000000054C4: 7F880BC4
	v_cvt_f32_i32_e32 v197, v197                               // 0000000054C8: 7F8A0BC5
	v_cvt_f32_i32_e32 v198, v198                               // 0000000054CC: 7F8C0BC6
	v_cvt_f32_i32_e32 v199, v199                               // 0000000054D0: 7F8E0BC7
	v_mul_f32_e32 v196, v23, v196                              // 0000000054D4: 0B898917
	v_mul_f32_e32 v197, v23, v197                              // 0000000054D8: 0B8B8B17
	v_mul_f32_e32 v198, v23, v198                              // 0000000054DC: 0B8D8D17
	v_mul_f32_e32 v199, v23, v199                              // 0000000054E0: 0B8F8F17
	v_mul_f32_dpp v196, v12, v196 row_newbcast:8 row_mask:0xf bank_mask:0xf// 0000000054E4: 0B8988FA FF01580C
	v_mul_f32_dpp v197, v12, v197 row_newbcast:9 row_mask:0xf bank_mask:0xf// 0000000054EC: 0B8B8AFA FF01590C
	v_mul_f32_dpp v198, v12, v198 row_newbcast:10 row_mask:0xf bank_mask:0xf// 0000000054F4: 0B8D8CFA FF015A0C
	v_mul_f32_dpp v199, v12, v199 row_newbcast:11 row_mask:0xf bank_mask:0xf// 0000000054FC: 0B8F8EFA FF015B0C
	v_mul_f32_e32 v196, v18, v196                              // 000000005504: 0B898912
	v_mul_f32_e32 v197, v18, v197                              // 000000005508: 0B8B8B12
	v_mul_f32_e32 v198, v18, v198                              // 00000000550C: 0B8D8D12
	v_mul_f32_e32 v199, v18, v199                              // 000000005510: 0B8F8F12
	v_cvt_f32_i32_e32 v200, v200                               // 000000005514: 7F900BC8
	v_cvt_f32_i32_e32 v201, v201                               // 000000005518: 7F920BC9
	v_cvt_f32_i32_e32 v202, v202                               // 00000000551C: 7F940BCA
	v_cvt_f32_i32_e32 v203, v203                               // 000000005520: 7F960BCB
	v_mul_f32_e32 v200, v22, v200                              // 000000005524: 0B919116
	v_mul_f32_e32 v201, v22, v201                              // 000000005528: 0B939316
	v_mul_f32_e32 v202, v22, v202                              // 00000000552C: 0B959516
	v_mul_f32_e32 v203, v22, v203                              // 000000005530: 0B979716
	v_mul_f32_dpp v200, v12, v200 row_newbcast:12 row_mask:0xf bank_mask:0xf// 000000005534: 0B9190FA FF015C0C
	v_mul_f32_dpp v201, v12, v201 row_newbcast:13 row_mask:0xf bank_mask:0xf// 00000000553C: 0B9392FA FF015D0C
	v_mul_f32_dpp v202, v12, v202 row_newbcast:14 row_mask:0xf bank_mask:0xf// 000000005544: 0B9594FA FF015E0C
	v_mul_f32_dpp v203, v12, v203 row_newbcast:15 row_mask:0xf bank_mask:0xf// 00000000554C: 0B9796FA FF015F0C
	v_mul_f32_e32 v200, v17, v200                              // 000000005554: 0B919111
	v_mul_f32_e32 v201, v17, v201                              // 000000005558: 0B939311
	v_mul_f32_e32 v202, v17, v202                              // 00000000555C: 0B959511
	v_mul_f32_e32 v203, v17, v203                              // 000000005560: 0B979711
	v_cvt_f32_i32_e32 v204, v204                               // 000000005564: 7F980BCC
	v_cvt_f32_i32_e32 v205, v205                               // 000000005568: 7F9A0BCD
	v_cvt_f32_i32_e32 v206, v206                               // 00000000556C: 7F9C0BCE
	v_cvt_f32_i32_e32 v207, v207                               // 000000005570: 7F9E0BCF
	v_mul_f32_e32 v204, v23, v204                              // 000000005574: 0B999917
	v_mul_f32_e32 v205, v23, v205                              // 000000005578: 0B9B9B17
	v_mul_f32_e32 v206, v23, v206                              // 00000000557C: 0B9D9D17
	v_mul_f32_e32 v207, v23, v207                              // 000000005580: 0B9F9F17
	v_mul_f32_dpp v204, v12, v204 row_newbcast:12 row_mask:0xf bank_mask:0xf// 000000005584: 0B9998FA FF015C0C
	v_mul_f32_dpp v205, v12, v205 row_newbcast:13 row_mask:0xf bank_mask:0xf// 00000000558C: 0B9B9AFA FF015D0C
	v_mul_f32_dpp v206, v12, v206 row_newbcast:14 row_mask:0xf bank_mask:0xf// 000000005594: 0B9D9CFA FF015E0C
	v_mul_f32_dpp v207, v12, v207 row_newbcast:15 row_mask:0xf bank_mask:0xf// 00000000559C: 0B9F9EFA FF015F0C
	v_mul_f32_e32 v204, v18, v204                              // 0000000055A4: 0B999912
	v_mul_f32_e32 v205, v18, v205                              // 0000000055A8: 0B9B9B12
	v_mul_f32_e32 v206, v18, v206                              // 0000000055AC: 0B9D9D12
	v_mul_f32_e32 v207, v18, v207                              // 0000000055B0: 0B9F9F12
	v_cmp_u_f32_e64 s[48:49], v176, v176                       // 0000000055B4: D0480030 000361B0
	v_add3_u32 v38, v176, v41, 1                               // 0000000055BC: D1FF0026 020653B0
	v_cndmask_b32_e64 v44, v38, v40, s[48:49]                  // 0000000055C4: D100002C 00C25126
	v_cmp_u_f32_e64 s[48:49], v177, v177                       // 0000000055CC: D0480030 000363B1
	v_add3_u32 v38, v177, v41, 1                               // 0000000055D4: D1FF0026 020653B1
	v_cndmask_b32_e64 v45, v38, v40, s[48:49]                  // 0000000055DC: D100002D 00C25126
	v_perm_b32 v176, v45, v44, s52                             // 0000000055E4: D1ED00B0 00D2592D
	v_cmp_u_f32_e64 s[48:49], v178, v178                       // 0000000055EC: D0480030 000365B2
	v_add3_u32 v38, v178, v41, 1                               // 0000000055F4: D1FF0026 020653B2
	v_cndmask_b32_e64 v44, v38, v40, s[48:49]                  // 0000000055FC: D100002C 00C25126
	v_cmp_u_f32_e64 s[48:49], v179, v179                       // 000000005604: D0480030 000367B3
	v_add3_u32 v38, v179, v41, 1                               // 00000000560C: D1FF0026 020653B3
	v_cndmask_b32_e64 v45, v38, v40, s[48:49]                  // 000000005614: D100002D 00C25126
	v_perm_b32 v177, v45, v44, s52                             // 00000000561C: D1ED00B1 00D2592D
	v_cmp_u_f32_e64 s[48:49], v180, v180                       // 000000005624: D0480030 000369B4
	v_add3_u32 v38, v180, v41, 1                               // 00000000562C: D1FF0026 020653B4
	v_cndmask_b32_e64 v44, v38, v40, s[48:49]                  // 000000005634: D100002C 00C25126
	v_cmp_u_f32_e64 s[48:49], v181, v181                       // 00000000563C: D0480030 00036BB5
	v_add3_u32 v38, v181, v41, 1                               // 000000005644: D1FF0026 020653B5
	v_cndmask_b32_e64 v45, v38, v40, s[48:49]                  // 00000000564C: D100002D 00C25126
	v_perm_b32 v178, v45, v44, s52                             // 000000005654: D1ED00B2 00D2592D
	v_cmp_u_f32_e64 s[48:49], v182, v182                       // 00000000565C: D0480030 00036DB6
	v_add3_u32 v38, v182, v41, 1                               // 000000005664: D1FF0026 020653B6
	v_cndmask_b32_e64 v44, v38, v40, s[48:49]                  // 00000000566C: D100002C 00C25126
	v_cmp_u_f32_e64 s[48:49], v183, v183                       // 000000005674: D0480030 00036FB7
	v_add3_u32 v38, v183, v41, 1                               // 00000000567C: D1FF0026 020653B7
	v_cndmask_b32_e64 v45, v38, v40, s[48:49]                  // 000000005684: D100002D 00C25126
	v_perm_b32 v179, v45, v44, s52                             // 00000000568C: D1ED00B3 00D2592D
	v_cmp_u_f32_e64 s[48:49], v184, v184                       // 000000005694: D0480030 000371B8
	v_add3_u32 v38, v184, v41, 1                               // 00000000569C: D1FF0026 020653B8
	v_cndmask_b32_e64 v44, v38, v40, s[48:49]                  // 0000000056A4: D100002C 00C25126
	v_cmp_u_f32_e64 s[48:49], v185, v185                       // 0000000056AC: D0480030 000373B9
	v_add3_u32 v38, v185, v41, 1                               // 0000000056B4: D1FF0026 020653B9
	v_cndmask_b32_e64 v45, v38, v40, s[48:49]                  // 0000000056BC: D100002D 00C25126
	v_perm_b32 v180, v45, v44, s52                             // 0000000056C4: D1ED00B4 00D2592D
	v_cmp_u_f32_e64 s[48:49], v186, v186                       // 0000000056CC: D0480030 000375BA
	v_add3_u32 v38, v186, v41, 1                               // 0000000056D4: D1FF0026 020653BA
	v_cndmask_b32_e64 v44, v38, v40, s[48:49]                  // 0000000056DC: D100002C 00C25126
	v_cmp_u_f32_e64 s[48:49], v187, v187                       // 0000000056E4: D0480030 000377BB
	v_add3_u32 v38, v187, v41, 1                               // 0000000056EC: D1FF0026 020653BB
	v_cndmask_b32_e64 v45, v38, v40, s[48:49]                  // 0000000056F4: D100002D 00C25126
	v_perm_b32 v181, v45, v44, s52                             // 0000000056FC: D1ED00B5 00D2592D
	v_cmp_u_f32_e64 s[48:49], v188, v188                       // 000000005704: D0480030 000379BC
	v_add3_u32 v38, v188, v41, 1                               // 00000000570C: D1FF0026 020653BC
	v_cndmask_b32_e64 v44, v38, v40, s[48:49]                  // 000000005714: D100002C 00C25126
	v_cmp_u_f32_e64 s[48:49], v189, v189                       // 00000000571C: D0480030 00037BBD
	v_add3_u32 v38, v189, v41, 1                               // 000000005724: D1FF0026 020653BD
	v_cndmask_b32_e64 v45, v38, v40, s[48:49]                  // 00000000572C: D100002D 00C25126
	v_perm_b32 v182, v45, v44, s52                             // 000000005734: D1ED00B6 00D2592D
	v_cmp_u_f32_e64 s[48:49], v190, v190                       // 00000000573C: D0480030 00037DBE
	v_add3_u32 v38, v190, v41, 1                               // 000000005744: D1FF0026 020653BE
	v_cndmask_b32_e64 v44, v38, v40, s[48:49]                  // 00000000574C: D100002C 00C25126
	v_cmp_u_f32_e64 s[48:49], v191, v191                       // 000000005754: D0480030 00037FBF
	v_add3_u32 v38, v191, v41, 1                               // 00000000575C: D1FF0026 020653BF
	v_cndmask_b32_e64 v45, v38, v40, s[48:49]                  // 000000005764: D100002D 00C25126
	v_perm_b32 v183, v45, v44, s52                             // 00000000576C: D1ED00B7 00D2592D
	v_cmp_u_f32_e64 s[48:49], v192, v192                       // 000000005774: D0480030 000381C0
	v_add3_u32 v38, v192, v41, 1                               // 00000000577C: D1FF0026 020653C0
	v_cndmask_b32_e64 v44, v38, v40, s[48:49]                  // 000000005784: D100002C 00C25126
	v_cmp_u_f32_e64 s[48:49], v193, v193                       // 00000000578C: D0480030 000383C1
	v_add3_u32 v38, v193, v41, 1                               // 000000005794: D1FF0026 020653C1
	v_cndmask_b32_e64 v45, v38, v40, s[48:49]                  // 00000000579C: D100002D 00C25126
	v_perm_b32 v184, v45, v44, s52                             // 0000000057A4: D1ED00B8 00D2592D
	v_cmp_u_f32_e64 s[48:49], v194, v194                       // 0000000057AC: D0480030 000385C2
	v_add3_u32 v38, v194, v41, 1                               // 0000000057B4: D1FF0026 020653C2
	v_cndmask_b32_e64 v44, v38, v40, s[48:49]                  // 0000000057BC: D100002C 00C25126
	v_cmp_u_f32_e64 s[48:49], v195, v195                       // 0000000057C4: D0480030 000387C3
	v_add3_u32 v38, v195, v41, 1                               // 0000000057CC: D1FF0026 020653C3
	v_cndmask_b32_e64 v45, v38, v40, s[48:49]                  // 0000000057D4: D100002D 00C25126
	v_perm_b32 v185, v45, v44, s52                             // 0000000057DC: D1ED00B9 00D2592D
	v_cmp_u_f32_e64 s[48:49], v196, v196                       // 0000000057E4: D0480030 000389C4
	v_add3_u32 v38, v196, v41, 1                               // 0000000057EC: D1FF0026 020653C4
	v_cndmask_b32_e64 v44, v38, v40, s[48:49]                  // 0000000057F4: D100002C 00C25126
	v_cmp_u_f32_e64 s[48:49], v197, v197                       // 0000000057FC: D0480030 00038BC5
	v_add3_u32 v38, v197, v41, 1                               // 000000005804: D1FF0026 020653C5
	v_cndmask_b32_e64 v45, v38, v40, s[48:49]                  // 00000000580C: D100002D 00C25126
	v_perm_b32 v186, v45, v44, s52                             // 000000005814: D1ED00BA 00D2592D
	v_cmp_u_f32_e64 s[48:49], v198, v198                       // 00000000581C: D0480030 00038DC6
	v_add3_u32 v38, v198, v41, 1                               // 000000005824: D1FF0026 020653C6
	v_cndmask_b32_e64 v44, v38, v40, s[48:49]                  // 00000000582C: D100002C 00C25126
	v_cmp_u_f32_e64 s[48:49], v199, v199                       // 000000005834: D0480030 00038FC7
	v_add3_u32 v38, v199, v41, 1                               // 00000000583C: D1FF0026 020653C7
	v_cndmask_b32_e64 v45, v38, v40, s[48:49]                  // 000000005844: D100002D 00C25126
	v_perm_b32 v187, v45, v44, s52                             // 00000000584C: D1ED00BB 00D2592D
	v_cmp_u_f32_e64 s[48:49], v200, v200                       // 000000005854: D0480030 000391C8
	v_add3_u32 v38, v200, v41, 1                               // 00000000585C: D1FF0026 020653C8
	v_cndmask_b32_e64 v44, v38, v40, s[48:49]                  // 000000005864: D100002C 00C25126
	v_cmp_u_f32_e64 s[48:49], v201, v201                       // 00000000586C: D0480030 000393C9
	v_add3_u32 v38, v201, v41, 1                               // 000000005874: D1FF0026 020653C9
	v_cndmask_b32_e64 v45, v38, v40, s[48:49]                  // 00000000587C: D100002D 00C25126
	v_perm_b32 v188, v45, v44, s52                             // 000000005884: D1ED00BC 00D2592D
	v_cmp_u_f32_e64 s[48:49], v202, v202                       // 00000000588C: D0480030 000395CA
	v_add3_u32 v38, v202, v41, 1                               // 000000005894: D1FF0026 020653CA
	v_cndmask_b32_e64 v44, v38, v40, s[48:49]                  // 00000000589C: D100002C 00C25126
	v_cmp_u_f32_e64 s[48:49], v203, v203                       // 0000000058A4: D0480030 000397CB
	v_add3_u32 v38, v203, v41, 1                               // 0000000058AC: D1FF0026 020653CB
	v_cndmask_b32_e64 v45, v38, v40, s[48:49]                  // 0000000058B4: D100002D 00C25126
	v_perm_b32 v189, v45, v44, s52                             // 0000000058BC: D1ED00BD 00D2592D
	v_cmp_u_f32_e64 s[48:49], v204, v204                       // 0000000058C4: D0480030 000399CC
	v_add3_u32 v38, v204, v41, 1                               // 0000000058CC: D1FF0026 020653CC
	v_cndmask_b32_e64 v44, v38, v40, s[48:49]                  // 0000000058D4: D100002C 00C25126
	v_cmp_u_f32_e64 s[48:49], v205, v205                       // 0000000058DC: D0480030 00039BCD
	v_add3_u32 v38, v205, v41, 1                               // 0000000058E4: D1FF0026 020653CD
	v_cndmask_b32_e64 v45, v38, v40, s[48:49]                  // 0000000058EC: D100002D 00C25126
	v_perm_b32 v190, v45, v44, s52                             // 0000000058F4: D1ED00BE 00D2592D
	v_cmp_u_f32_e64 s[48:49], v206, v206                       // 0000000058FC: D0480030 00039DCE
	v_add3_u32 v38, v206, v41, 1                               // 000000005904: D1FF0026 020653CE
	v_cndmask_b32_e64 v44, v38, v40, s[48:49]                  // 00000000590C: D100002C 00C25126
	v_cmp_u_f32_e64 s[48:49], v207, v207                       // 000000005914: D0480030 00039FCF
	v_add3_u32 v38, v207, v41, 1                               // 00000000591C: D1FF0026 020653CF
	v_cndmask_b32_e64 v45, v38, v40, s[48:49]                  // 000000005924: D100002D 00C25126
	v_perm_b32 v191, v45, v44, s52                             // 00000000592C: D1ED00BF 00D2592D
	ds_write_b64 v3, v[176:177] offset:22784                   // 000000005934: D89A5900 0000B003
	ds_write_b64 v3, v[178:179] offset:31488                   // 00000000593C: D89A7B00 0000B203
	ds_write_b64 v3, v[180:181] offset:24960                   // 000000005944: D89A6180 0000B403
	ds_write_b64 v3, v[182:183] offset:33664                   // 00000000594C: D89A8380 0000B603
	ds_write_b64 v3, v[184:185] offset:27136                   // 000000005954: D89A6A00 0000B803
	ds_write_b64 v3, v[186:187] offset:35840                   // 00000000595C: D89A8C00 0000BA03
	ds_write_b64 v3, v[188:189] offset:29312                   // 000000005964: D89A7280 0000BC03
	ds_write_b64 v3, v[190:191] offset:38016                   // 00000000596C: D89A9480 0000BE03
	s_waitcnt lgkmcnt(0)                                       // 000000005974: BF8CC07F
	s_barrier                                                  // 000000005978: BF8A0000
	ds_read_b32 v64, v4 offset:22784                           // 00000000597C: D86C5900 40000004
	ds_read_b32 v65, v4 offset:27136                           // 000000005984: D86C6A00 41000004
	ds_read_b32 v66, v4 offset:22816                           // 00000000598C: D86C5920 42000004
	ds_read_b32 v67, v4 offset:27168                           // 000000005994: D86C6A20 43000004
	ds_read_b32 v68, v4 offset:22848                           // 00000000599C: D86C5940 44000004
	ds_read_b32 v69, v4 offset:27200                           // 0000000059A4: D86C6A40 45000004
	ds_read_b32 v70, v4 offset:22880                           // 0000000059AC: D86C5960 46000004
	ds_read_b32 v71, v4 offset:27232                           // 0000000059B4: D86C6A60 47000004
	ds_read_b32 v72, v4 offset:31488                           // 0000000059BC: D86C7B00 48000004
	ds_read_b32 v73, v4 offset:35840                           // 0000000059C4: D86C8C00 49000004
	ds_read_b32 v74, v4 offset:31520                           // 0000000059CC: D86C7B20 4A000004
	ds_read_b32 v75, v4 offset:35872                           // 0000000059D4: D86C8C20 4B000004
	ds_read_b32 v76, v4 offset:31552                           // 0000000059DC: D86C7B40 4C000004
	ds_read_b32 v77, v4 offset:35904                           // 0000000059E4: D86C8C40 4D000004
	ds_read_b32 v78, v4 offset:31584                           // 0000000059EC: D86C7B60 4E000004
	ds_read_b32 v79, v4 offset:35936                           // 0000000059F4: D86C8C60 4F000004
	s_waitcnt lgkmcnt(0)                                       // 0000000059FC: BF8CC07F
	s_mov_b64 exec, s[20:21]                                   // 000000005A00: BEFE0114
	global_atomic_pk_add_bf16 v80, v64, s[8:9]                 // 000000005A04: DD488000 00084050
	s_mov_b64 exec, s[36:37]                                   // 000000005A0C: BEFE0124
	s_mov_b64 exec, s[20:21]                                   // 000000005A10: BEFE0114
	global_atomic_pk_add_bf16 v80, v65, s[8:9] offset:256      // 000000005A14: DD488100 00084150
	s_mov_b64 exec, s[36:37]                                   // 000000005A1C: BEFE0124
	s_mov_b64 exec, s[22:23]                                   // 000000005A20: BEFE0116
	global_atomic_pk_add_bf16 v82, v66, s[8:9]                 // 000000005A24: DD488000 00084252
	s_mov_b64 exec, s[36:37]                                   // 000000005A2C: BEFE0124
	s_mov_b64 exec, s[22:23]                                   // 000000005A30: BEFE0116
	global_atomic_pk_add_bf16 v82, v67, s[8:9] offset:256      // 000000005A34: DD488100 00084352
	s_mov_b64 exec, s[36:37]                                   // 000000005A3C: BEFE0124
	s_mov_b64 exec, s[24:25]                                   // 000000005A40: BEFE0118
	global_atomic_pk_add_bf16 v84, v68, s[8:9]                 // 000000005A44: DD488000 00084454
	s_mov_b64 exec, s[36:37]                                   // 000000005A4C: BEFE0124
	s_mov_b64 exec, s[24:25]                                   // 000000005A50: BEFE0118
	global_atomic_pk_add_bf16 v84, v69, s[8:9] offset:256      // 000000005A54: DD488100 00084554
	s_mov_b64 exec, s[36:37]                                   // 000000005A5C: BEFE0124
	s_mov_b64 exec, s[26:27]                                   // 000000005A60: BEFE011A
	global_atomic_pk_add_bf16 v86, v70, s[8:9]                 // 000000005A64: DD488000 00084656
	s_mov_b64 exec, s[36:37]                                   // 000000005A6C: BEFE0124
	s_mov_b64 exec, s[26:27]                                   // 000000005A70: BEFE011A
	global_atomic_pk_add_bf16 v86, v71, s[8:9] offset:256      // 000000005A74: DD488100 00084756
	s_mov_b64 exec, s[36:37]                                   // 000000005A7C: BEFE0124
	s_mov_b64 exec, s[28:29]                                   // 000000005A80: BEFE011C
	global_atomic_pk_add_bf16 v88, v72, s[8:9]                 // 000000005A84: DD488000 00084858
	s_mov_b64 exec, s[36:37]                                   // 000000005A8C: BEFE0124
	s_mov_b64 exec, s[28:29]                                   // 000000005A90: BEFE011C
	global_atomic_pk_add_bf16 v88, v73, s[8:9] offset:256      // 000000005A94: DD488100 00084958
	s_mov_b64 exec, s[36:37]                                   // 000000005A9C: BEFE0124
	s_mov_b64 exec, s[30:31]                                   // 000000005AA0: BEFE011E
	global_atomic_pk_add_bf16 v90, v74, s[8:9]                 // 000000005AA4: DD488000 00084A5A
	s_mov_b64 exec, s[36:37]                                   // 000000005AAC: BEFE0124
	s_mov_b64 exec, s[30:31]                                   // 000000005AB0: BEFE011E
	global_atomic_pk_add_bf16 v90, v75, s[8:9] offset:256      // 000000005AB4: DD488100 00084B5A
	s_mov_b64 exec, s[36:37]                                   // 000000005ABC: BEFE0124
	s_mov_b64 exec, s[32:33]                                   // 000000005AC0: BEFE0120
	global_atomic_pk_add_bf16 v92, v76, s[8:9]                 // 000000005AC4: DD488000 00084C5C
	s_mov_b64 exec, s[36:37]                                   // 000000005ACC: BEFE0124
	s_mov_b64 exec, s[32:33]                                   // 000000005AD0: BEFE0120
	global_atomic_pk_add_bf16 v92, v77, s[8:9] offset:256      // 000000005AD4: DD488100 00084D5C
	s_mov_b64 exec, s[36:37]                                   // 000000005ADC: BEFE0124
	s_mov_b64 exec, s[34:35]                                   // 000000005AE0: BEFE0122
	global_atomic_pk_add_bf16 v94, v78, s[8:9]                 // 000000005AE4: DD488000 00084E5E
	s_mov_b64 exec, s[36:37]                                   // 000000005AEC: BEFE0124
	s_mov_b64 exec, s[34:35]                                   // 000000005AF0: BEFE0122
	global_atomic_pk_add_bf16 v94, v79, s[8:9] offset:256      // 000000005AF4: DD488100 00084F5E
	s_mov_b64 exec, s[36:37]                                   // 000000005AFC: BEFE0124
	s_add_u32 s8, s59, s8                                      // 000000005B00: 8008083B
	s_addc_u32 s9, 0, s9                                       // 000000005B04: 82090980
	s_addk_i32 s80, 0x100                                      // 000000005B08: B7500100
	s_cmp_lt_i32 s80, s81                                      // 000000005B0C: BF045150
	s_cbranch_scc0 label_0B46                                  // 000000005B10: BF840001
	s_branch label_0693                                        // 000000005B14: BF82FB4D

0000000000005b18 <label_0B46>:
	s_nop 0                                                    // 000000005B18: BF800000
	s_nop 0                                                    // 000000005B1C: BF800000
	s_branch label_1401                                        // 000000005B20: BF8208B8

0000000000005b24 <label_0B49>:
	s_waitcnt vmcnt(0) lgkmcnt(0)                              // 000000005B24: BF8C0070
	s_barrier                                                  // 000000005B28: BF8A0000
	v_mfma_i32_16x16x32_i8 v[128:131], a[0:1], v[144:145], v[128:131]// 000000005B2C: D3D70080 0E032100
	buffer_load_dwordx4 a[32:35], v32, s[92:95], 0 offen       // 000000005B34: E05C1000 80972020
	v_mfma_i32_16x16x32_i8 v[128:131], a[2:3], v[146:147], v[128:131]// 000000005B3C: D3D70080 0E032502
	v_mfma_i32_16x16x32_i8 v[128:131], a[4:5], v[148:149], v[128:131]// 000000005B44: D3D70080 0E032904
	buffer_load_dword v24, s[20:23], 0 offen lds               // 000000005B4C: E0511000 80050018
	s_add_u32 m0, 0x100, s51                                   // 000000005B54: 807C33FF 00000100
	v_mfma_i32_16x16x32_i8 v[128:131], a[6:7], v[150:151], v[128:131]// 000000005B5C: D3D70080 0E032D06
	v_mfma_i32_16x16x32_i8 v[128:131], a[8:9], v[152:153], v[128:131]// 000000005B64: D3D70080 0E033108
	buffer_load_dwordx4 a[36:39], v32, s[92:95], 0 offen offset:1024// 000000005B6C: E05C1400 80972420
	v_mfma_i32_16x16x32_i8 v[128:131], a[10:11], v[154:155], v[128:131]// 000000005B74: D3D70080 0E03350A
	v_mfma_i32_16x16x32_i8 v[128:131], a[12:13], v[156:157], v[128:131]// 000000005B7C: D3D70080 0E03390C
	buffer_load_dword v25, s[20:23], 0 offen lds               // 000000005B84: E0511000 80050019
	s_add_u32 m0, 0x200, s51                                   // 000000005B8C: 807C33FF 00000200
	v_mfma_i32_16x16x32_i8 v[128:131], a[14:15], v[158:159], v[128:131]// 000000005B94: D3D70080 0E033D0E
	v_mfma_i32_16x16x32_i8 v[132:135], a[0:1], v[160:161], v[132:135]// 000000005B9C: D3D70084 0E134100
	buffer_load_dwordx4 a[40:43], v32, s[92:95], 0 offen offset:2048// 000000005BA4: E05C1800 80972820
	v_mfma_i32_16x16x32_i8 v[132:135], a[2:3], v[162:163], v[132:135]// 000000005BAC: D3D70084 0E134502
	v_mfma_i32_16x16x32_i8 v[132:135], a[4:5], v[164:165], v[132:135]// 000000005BB4: D3D70084 0E134904
	buffer_load_dword v26, s[20:23], 0 offen lds               // 000000005BBC: E0511000 8005001A
	s_add_u32 m0, 0x300, s51                                   // 000000005BC4: 807C33FF 00000300
	v_mfma_i32_16x16x32_i8 v[132:135], a[6:7], v[166:167], v[132:135]// 000000005BCC: D3D70084 0E134D06
	v_mfma_i32_16x16x32_i8 v[132:135], a[8:9], v[168:169], v[132:135]// 000000005BD4: D3D70084 0E135108
	buffer_load_dwordx4 a[44:47], v32, s[92:95], 0 offen offset:3072// 000000005BDC: E05C1C00 80972C20
	v_mfma_i32_16x16x32_i8 v[132:135], a[10:11], v[170:171], v[132:135]// 000000005BE4: D3D70084 0E13550A
	v_mfma_i32_16x16x32_i8 v[132:135], a[12:13], v[172:173], v[132:135]// 000000005BEC: D3D70084 0E13590C
	buffer_load_dword v27, s[20:23], 0 offen lds               // 000000005BF4: E0511000 8005001B
	s_add_u32 m0, 0x400, s51                                   // 000000005BFC: 807C33FF 00000400
	v_mfma_i32_16x16x32_i8 v[132:135], a[14:15], v[174:175], v[132:135]// 000000005C04: D3D70084 0E135D0E
	v_mfma_i32_16x16x32_i8 v[136:139], a[16:17], v[144:145], v[136:139]// 000000005C0C: D3D70088 0E232110
	buffer_load_dwordx4 a[48:51], v33, s[92:95], 0 offen       // 000000005C14: E05C1000 80973021
	v_mfma_i32_16x16x32_i8 v[136:139], a[18:19], v[146:147], v[136:139]// 000000005C1C: D3D70088 0E232512
	v_mfma_i32_16x16x32_i8 v[136:139], a[20:21], v[148:149], v[136:139]// 000000005C24: D3D70088 0E232914
	buffer_load_dword v28, s[20:23], 0 offen lds               // 000000005C2C: E0511000 8005001C
	s_add_u32 m0, 0x500, s51                                   // 000000005C34: 807C33FF 00000500
	v_mfma_i32_16x16x32_i8 v[136:139], a[22:23], v[150:151], v[136:139]// 000000005C3C: D3D70088 0E232D16
	v_mfma_i32_16x16x32_i8 v[136:139], a[24:25], v[152:153], v[136:139]// 000000005C44: D3D70088 0E233118
	buffer_load_dwordx4 a[52:55], v33, s[92:95], 0 offen offset:1024// 000000005C4C: E05C1400 80973421
	v_mfma_i32_16x16x32_i8 v[136:139], a[26:27], v[154:155], v[136:139]// 000000005C54: D3D70088 0E23351A
	v_mfma_i32_16x16x32_i8 v[136:139], a[28:29], v[156:157], v[136:139]// 000000005C5C: D3D70088 0E23391C
	buffer_load_dword v29, s[20:23], 0 offen lds               // 000000005C64: E0511000 8005001D
	s_add_u32 m0, 0x600, s51                                   // 000000005C6C: 807C33FF 00000600
	v_mfma_i32_16x16x32_i8 v[136:139], a[30:31], v[158:159], v[136:139]// 000000005C74: D3D70088 0E233D1E
	v_mfma_i32_16x16x32_i8 v[140:143], a[16:17], v[160:161], v[140:143]// 000000005C7C: D3D7008C 0E334110
	buffer_load_dwordx4 a[56:59], v33, s[92:95], 0 offen offset:2048// 000000005C84: E05C1800 80973821
	v_mfma_i32_16x16x32_i8 v[140:143], a[18:19], v[162:163], v[140:143]// 000000005C8C: D3D7008C 0E334512
	v_mfma_i32_16x16x32_i8 v[140:143], a[20:21], v[164:165], v[140:143]// 000000005C94: D3D7008C 0E334914
	buffer_load_dword v30, s[20:23], 0 offen lds               // 000000005C9C: E0511000 8005001E
	s_add_u32 m0, 0x700, s51                                   // 000000005CA4: 807C33FF 00000700
	v_mfma_i32_16x16x32_i8 v[140:143], a[22:23], v[166:167], v[140:143]// 000000005CAC: D3D7008C 0E334D16
	v_mfma_i32_16x16x32_i8 v[140:143], a[24:25], v[168:169], v[140:143]// 000000005CB4: D3D7008C 0E335118
	buffer_load_dwordx4 a[60:63], v33, s[92:95], 0 offen offset:3072// 000000005CBC: E05C1C00 80973C21
	v_mfma_i32_16x16x32_i8 v[140:143], a[26:27], v[170:171], v[140:143]// 000000005CC4: D3D7008C 0E33551A
	v_mfma_i32_16x16x32_i8 v[140:143], a[28:29], v[172:173], v[140:143]// 000000005CCC: D3D7008C 0E33591C
	buffer_load_dword v31, s[20:23], 0 offen lds               // 000000005CD4: E0511000 8005001F
	s_add_u32 m0, 0, s50                                       // 000000005CDC: 807C3280
	v_mfma_i32_16x16x32_i8 v[140:143], a[30:31], v[174:175], v[140:143]// 000000005CE0: D3D7008C 0E335D1E
	s_waitcnt vmcnt(0)                                         // 000000005CE8: BF8C0F70
	s_barrier                                                  // 000000005CEC: BF8A0000
	v_mfma_i32_16x16x32_i8 v[64:67], a[32:33], v[144:145], v[64:67]// 000000005CF0: D3D70040 0D032120
	buffer_load_dwordx4 a[0:3], v32, s[24:27], 0 offen         // 000000005CF8: E05C1000 80860020
	v_mfma_i32_16x16x32_i8 v[64:67], a[34:35], v[146:147], v[64:67]// 000000005D00: D3D70040 0D032522
	v_mfma_i32_16x16x32_i8 v[64:67], a[36:37], v[148:149], v[64:67]// 000000005D08: D3D70040 0D032924
	ds_read_b128 v[176:179], v2 offset:8320                    // 000000005D10: D9FE2080 B0000002
	v_mfma_i32_16x16x32_i8 v[64:67], a[38:39], v[150:151], v[64:67]// 000000005D18: D3D70040 0D032D26
	v_mfma_i32_16x16x32_i8 v[64:67], a[40:41], v[152:153], v[64:67]// 000000005D20: D3D70040 0D033128
	buffer_load_dwordx4 a[4:7], v32, s[24:27], 0 offen offset:1024// 000000005D28: E05C1400 80860420
	v_mfma_i32_16x16x32_i8 v[64:67], a[42:43], v[154:155], v[64:67]// 000000005D30: D3D70040 0D03352A
	v_mfma_i32_16x16x32_i8 v[64:67], a[44:45], v[156:157], v[64:67]// 000000005D38: D3D70040 0D03392C
	ds_read_b128 v[180:183], v2 offset:8384                    // 000000005D40: D9FE20C0 B4000002
	v_mfma_i32_16x16x32_i8 v[64:67], a[46:47], v[158:159], v[64:67]// 000000005D48: D3D70040 0D033D2E
	v_mfma_i32_16x16x32_i8 v[68:71], a[32:33], v[160:161], v[68:71]// 000000005D50: D3D70044 0D134120
	buffer_load_dwordx4 a[8:11], v32, s[24:27], 0 offen offset:2048// 000000005D58: E05C1800 80860820
	v_mfma_i32_16x16x32_i8 v[68:71], a[34:35], v[162:163], v[68:71]// 000000005D60: D3D70044 0D134522
	v_mfma_i32_16x16x32_i8 v[68:71], a[36:37], v[164:165], v[68:71]// 000000005D68: D3D70044 0D134924
	ds_read_b128 v[184:187], v2 offset:8448                    // 000000005D70: D9FE2100 B8000002
	v_mfma_i32_16x16x32_i8 v[68:71], a[38:39], v[166:167], v[68:71]// 000000005D78: D3D70044 0D134D26
	v_mfma_i32_16x16x32_i8 v[68:71], a[40:41], v[168:169], v[68:71]// 000000005D80: D3D70044 0D135128
	buffer_load_dwordx4 a[12:15], v32, s[24:27], 0 offen offset:3072// 000000005D88: E05C1C00 80860C20
	v_mfma_i32_16x16x32_i8 v[68:71], a[42:43], v[170:171], v[68:71]// 000000005D90: D3D70044 0D13552A
	v_mfma_i32_16x16x32_i8 v[68:71], a[44:45], v[172:173], v[68:71]// 000000005D98: D3D70044 0D13592C
	ds_read_b128 v[188:191], v2 offset:8512                    // 000000005DA0: D9FE2140 BC000002
	v_mfma_i32_16x16x32_i8 v[68:71], a[46:47], v[174:175], v[68:71]// 000000005DA8: D3D70044 0D135D2E
	v_mfma_i32_16x16x32_i8 v[72:75], a[48:49], v[144:145], v[72:75]// 000000005DB0: D3D70048 0D232130
	buffer_load_dwordx4 a[16:19], v33, s[24:27], 0 offen       // 000000005DB8: E05C1000 80861021
	v_mfma_i32_16x16x32_i8 v[72:75], a[50:51], v[146:147], v[72:75]// 000000005DC0: D3D70048 0D232532
	v_mfma_i32_16x16x32_i8 v[72:75], a[52:53], v[148:149], v[72:75]// 000000005DC8: D3D70048 0D232934
	ds_read_b128 v[192:195], v2 offset:9344                    // 000000005DD0: D9FE2480 C0000002
	v_mfma_i32_16x16x32_i8 v[72:75], a[54:55], v[150:151], v[72:75]// 000000005DD8: D3D70048 0D232D36
	v_mfma_i32_16x16x32_i8 v[72:75], a[56:57], v[152:153], v[72:75]// 000000005DE0: D3D70048 0D233138
	buffer_load_dwordx4 a[20:23], v33, s[24:27], 0 offen offset:1024// 000000005DE8: E05C1400 80861421
	v_mfma_i32_16x16x32_i8 v[72:75], a[58:59], v[154:155], v[72:75]// 000000005DF0: D3D70048 0D23353A
	v_mfma_i32_16x16x32_i8 v[72:75], a[60:61], v[156:157], v[72:75]// 000000005DF8: D3D70048 0D23393C
	ds_read_b128 v[196:199], v2 offset:9408                    // 000000005E00: D9FE24C0 C4000002
	v_mfma_i32_16x16x32_i8 v[72:75], a[62:63], v[158:159], v[72:75]// 000000005E08: D3D70048 0D233D3E
	v_mfma_i32_16x16x32_i8 v[76:79], a[48:49], v[160:161], v[76:79]// 000000005E10: D3D7004C 0D334130
	buffer_load_dwordx4 a[24:27], v33, s[24:27], 0 offen offset:2048// 000000005E18: E05C1800 80861821
	v_mfma_i32_16x16x32_i8 v[76:79], a[50:51], v[162:163], v[76:79]// 000000005E20: D3D7004C 0D334532
	v_mfma_i32_16x16x32_i8 v[76:79], a[52:53], v[164:165], v[76:79]// 000000005E28: D3D7004C 0D334934
	ds_read_b128 v[200:203], v2 offset:9472                    // 000000005E30: D9FE2500 C8000002
	v_mfma_i32_16x16x32_i8 v[76:79], a[54:55], v[166:167], v[76:79]// 000000005E38: D3D7004C 0D334D36
	v_mfma_i32_16x16x32_i8 v[76:79], a[56:57], v[168:169], v[76:79]// 000000005E40: D3D7004C 0D335138
	buffer_load_dwordx4 a[28:31], v33, s[24:27], 0 offen offset:3072// 000000005E48: E05C1C00 80861C21
	v_mfma_i32_16x16x32_i8 v[76:79], a[58:59], v[170:171], v[76:79]// 000000005E50: D3D7004C 0D33553A
	v_mfma_i32_16x16x32_i8 v[76:79], a[60:61], v[172:173], v[76:79]// 000000005E58: D3D7004C 0D33593C
	ds_read_b128 v[204:207], v2 offset:9536                    // 000000005E60: D9FE2540 CC000002
	v_mfma_i32_16x16x32_i8 v[76:79], a[62:63], v[174:175], v[76:79]// 000000005E68: D3D7004C 0D335D3E
	s_add_u32 s60, 0x200, s80                                  // 000000005E70: 803C50FF 00000200
	s_cmp_lt_u32 s60, s81                                      // 000000005E78: BF0A513C
	s_cselect_b32 s57, s57, 0                                  // 000000005E7C: 85398039
	s_add_u32 s60, 0x200, s80                                  // 000000005E80: 803C50FF 00000200
	s_cmp_lt_u32 s60, s81                                      // 000000005E88: BF0A513C
	s_cselect_b32 s58, s58, 0                                  // 000000005E8C: 853A803A
	s_add_u32 s20, s57, s20                                    // 000000005E90: 80141439
	s_addc_u32 s21, 0, s21                                     // 000000005E94: 82151580
	s_add_u32 s24, s58, s24                                    // 000000005E98: 8018183A
	s_addc_u32 s25, 0, s25                                     // 000000005E9C: 82191980
	s_add_u32 s92, s90, s92                                    // 000000005EA0: 805C5C5A
	s_addc_u32 s93, 0, s93                                     // 000000005EA4: 825D5D80
	s_addk_i32 s80, 0x100                                      // 000000005EA8: B7500100
	s_cmp_lt_i32 s80, s81                                      // 000000005EAC: BF045150
	s_cbranch_scc0 label_0D12                                  // 000000005EB0: BF8400E5
	s_waitcnt vmcnt(0) lgkmcnt(0)                              // 000000005EB4: BF8C0070
	s_barrier                                                  // 000000005EB8: BF8A0000
	v_mfma_i32_16x16x32_i8 v[128:131], a[0:1], v[176:177], v[128:131]// 000000005EBC: D3D70080 0E036100
	buffer_load_dwordx4 a[32:35], v32, s[92:95], 0 offen       // 000000005EC4: E05C1000 80972020
	v_mfma_i32_16x16x32_i8 v[128:131], a[2:3], v[178:179], v[128:131]// 000000005ECC: D3D70080 0E036502
	v_mfma_i32_16x16x32_i8 v[128:131], a[4:5], v[180:181], v[128:131]// 000000005ED4: D3D70080 0E036904
	buffer_load_dword v24, s[20:23], 0 offen lds               // 000000005EDC: E0511000 80050018
	s_add_u32 m0, 0x100, s50                                   // 000000005EE4: 807C32FF 00000100
	v_mfma_i32_16x16x32_i8 v[128:131], a[6:7], v[182:183], v[128:131]// 000000005EEC: D3D70080 0E036D06
	v_mfma_i32_16x16x32_i8 v[128:131], a[8:9], v[184:185], v[128:131]// 000000005EF4: D3D70080 0E037108
	buffer_load_dwordx4 a[36:39], v32, s[92:95], 0 offen offset:1024// 000000005EFC: E05C1400 80972420
	v_mfma_i32_16x16x32_i8 v[128:131], a[10:11], v[186:187], v[128:131]// 000000005F04: D3D70080 0E03750A
	v_mfma_i32_16x16x32_i8 v[128:131], a[12:13], v[188:189], v[128:131]// 000000005F0C: D3D70080 0E03790C
	buffer_load_dword v25, s[20:23], 0 offen lds               // 000000005F14: E0511000 80050019
	s_add_u32 m0, 0x200, s50                                   // 000000005F1C: 807C32FF 00000200
	v_mfma_i32_16x16x32_i8 v[128:131], a[14:15], v[190:191], v[128:131]// 000000005F24: D3D70080 0E037D0E
	v_mfma_i32_16x16x32_i8 v[132:135], a[0:1], v[192:193], v[132:135]// 000000005F2C: D3D70084 0E138100
	buffer_load_dwordx4 a[40:43], v32, s[92:95], 0 offen offset:2048// 000000005F34: E05C1800 80972820
	v_mfma_i32_16x16x32_i8 v[132:135], a[2:3], v[194:195], v[132:135]// 000000005F3C: D3D70084 0E138502
	v_mfma_i32_16x16x32_i8 v[132:135], a[4:5], v[196:197], v[132:135]// 000000005F44: D3D70084 0E138904
	buffer_load_dword v26, s[20:23], 0 offen lds               // 000000005F4C: E0511000 8005001A
	s_add_u32 m0, 0x300, s50                                   // 000000005F54: 807C32FF 00000300
	v_mfma_i32_16x16x32_i8 v[132:135], a[6:7], v[198:199], v[132:135]// 000000005F5C: D3D70084 0E138D06
	v_mfma_i32_16x16x32_i8 v[132:135], a[8:9], v[200:201], v[132:135]// 000000005F64: D3D70084 0E139108
	buffer_load_dwordx4 a[44:47], v32, s[92:95], 0 offen offset:3072// 000000005F6C: E05C1C00 80972C20
	v_mfma_i32_16x16x32_i8 v[132:135], a[10:11], v[202:203], v[132:135]// 000000005F74: D3D70084 0E13950A
	v_mfma_i32_16x16x32_i8 v[132:135], a[12:13], v[204:205], v[132:135]// 000000005F7C: D3D70084 0E13990C
	buffer_load_dword v27, s[20:23], 0 offen lds               // 000000005F84: E0511000 8005001B
	s_add_u32 m0, 0x400, s50                                   // 000000005F8C: 807C32FF 00000400
	v_mfma_i32_16x16x32_i8 v[132:135], a[14:15], v[206:207], v[132:135]// 000000005F94: D3D70084 0E139D0E
	v_mfma_i32_16x16x32_i8 v[136:139], a[16:17], v[176:177], v[136:139]// 000000005F9C: D3D70088 0E236110
	buffer_load_dwordx4 a[48:51], v33, s[92:95], 0 offen       // 000000005FA4: E05C1000 80973021
	v_mfma_i32_16x16x32_i8 v[136:139], a[18:19], v[178:179], v[136:139]// 000000005FAC: D3D70088 0E236512
	v_mfma_i32_16x16x32_i8 v[136:139], a[20:21], v[180:181], v[136:139]// 000000005FB4: D3D70088 0E236914
	buffer_load_dword v28, s[20:23], 0 offen lds               // 000000005FBC: E0511000 8005001C
	s_add_u32 m0, 0x500, s50                                   // 000000005FC4: 807C32FF 00000500
	v_mfma_i32_16x16x32_i8 v[136:139], a[22:23], v[182:183], v[136:139]// 000000005FCC: D3D70088 0E236D16
	v_mfma_i32_16x16x32_i8 v[136:139], a[24:25], v[184:185], v[136:139]// 000000005FD4: D3D70088 0E237118
	buffer_load_dwordx4 a[52:55], v33, s[92:95], 0 offen offset:1024// 000000005FDC: E05C1400 80973421
	v_mfma_i32_16x16x32_i8 v[136:139], a[26:27], v[186:187], v[136:139]// 000000005FE4: D3D70088 0E23751A
	v_mfma_i32_16x16x32_i8 v[136:139], a[28:29], v[188:189], v[136:139]// 000000005FEC: D3D70088 0E23791C
	buffer_load_dword v29, s[20:23], 0 offen lds               // 000000005FF4: E0511000 8005001D
	s_add_u32 m0, 0x600, s50                                   // 000000005FFC: 807C32FF 00000600
	v_mfma_i32_16x16x32_i8 v[136:139], a[30:31], v[190:191], v[136:139]// 000000006004: D3D70088 0E237D1E
	v_mfma_i32_16x16x32_i8 v[140:143], a[16:17], v[192:193], v[140:143]// 00000000600C: D3D7008C 0E338110
	buffer_load_dwordx4 a[56:59], v33, s[92:95], 0 offen offset:2048// 000000006014: E05C1800 80973821
	v_mfma_i32_16x16x32_i8 v[140:143], a[18:19], v[194:195], v[140:143]// 00000000601C: D3D7008C 0E338512
	v_mfma_i32_16x16x32_i8 v[140:143], a[20:21], v[196:197], v[140:143]// 000000006024: D3D7008C 0E338914
	buffer_load_dword v30, s[20:23], 0 offen lds               // 00000000602C: E0511000 8005001E
	s_add_u32 m0, 0x700, s50                                   // 000000006034: 807C32FF 00000700
	v_mfma_i32_16x16x32_i8 v[140:143], a[22:23], v[198:199], v[140:143]// 00000000603C: D3D7008C 0E338D16
	v_mfma_i32_16x16x32_i8 v[140:143], a[24:25], v[200:201], v[140:143]// 000000006044: D3D7008C 0E339118
	buffer_load_dwordx4 a[60:63], v33, s[92:95], 0 offen offset:3072// 00000000604C: E05C1C00 80973C21
	v_mfma_i32_16x16x32_i8 v[140:143], a[26:27], v[202:203], v[140:143]// 000000006054: D3D7008C 0E33951A
	v_mfma_i32_16x16x32_i8 v[140:143], a[28:29], v[204:205], v[140:143]// 00000000605C: D3D7008C 0E33991C
	buffer_load_dword v31, s[20:23], 0 offen lds               // 000000006064: E0511000 8005001F
	s_add_u32 m0, 0, s51                                       // 00000000606C: 807C3380
	v_mfma_i32_16x16x32_i8 v[140:143], a[30:31], v[206:207], v[140:143]// 000000006070: D3D7008C 0E339D1E
	s_waitcnt vmcnt(0)                                         // 000000006078: BF8C0F70
	s_barrier                                                  // 00000000607C: BF8A0000
	v_mfma_i32_16x16x32_i8 v[64:67], a[32:33], v[176:177], v[64:67]// 000000006080: D3D70040 0D036120
	buffer_load_dwordx4 a[0:3], v32, s[24:27], 0 offen         // 000000006088: E05C1000 80860020
	v_mfma_i32_16x16x32_i8 v[64:67], a[34:35], v[178:179], v[64:67]// 000000006090: D3D70040 0D036522
	v_mfma_i32_16x16x32_i8 v[64:67], a[36:37], v[180:181], v[64:67]// 000000006098: D3D70040 0D036924
	ds_read_b128 v[144:147], v2                                // 0000000060A0: D9FE0000 90000002
	v_mfma_i32_16x16x32_i8 v[64:67], a[38:39], v[182:183], v[64:67]// 0000000060A8: D3D70040 0D036D26
	v_mfma_i32_16x16x32_i8 v[64:67], a[40:41], v[184:185], v[64:67]// 0000000060B0: D3D70040 0D037128
	buffer_load_dwordx4 a[4:7], v32, s[24:27], 0 offen offset:1024// 0000000060B8: E05C1400 80860420
	v_mfma_i32_16x16x32_i8 v[64:67], a[42:43], v[186:187], v[64:67]// 0000000060C0: D3D70040 0D03752A
	v_mfma_i32_16x16x32_i8 v[64:67], a[44:45], v[188:189], v[64:67]// 0000000060C8: D3D70040 0D03792C
	ds_read_b128 v[148:151], v2 offset:64                      // 0000000060D0: D9FE0040 94000002
	v_mfma_i32_16x16x32_i8 v[64:67], a[46:47], v[190:191], v[64:67]// 0000000060D8: D3D70040 0D037D2E
	v_mfma_i32_16x16x32_i8 v[68:71], a[32:33], v[192:193], v[68:71]// 0000000060E0: D3D70044 0D138120
	buffer_load_dwordx4 a[8:11], v32, s[24:27], 0 offen offset:2048// 0000000060E8: E05C1800 80860820
	v_mfma_i32_16x16x32_i8 v[68:71], a[34:35], v[194:195], v[68:71]// 0000000060F0: D3D70044 0D138522
	v_mfma_i32_16x16x32_i8 v[68:71], a[36:37], v[196:197], v[68:71]// 0000000060F8: D3D70044 0D138924
	ds_read_b128 v[152:155], v2 offset:128                     // 000000006100: D9FE0080 98000002
	v_mfma_i32_16x16x32_i8 v[68:71], a[38:39], v[198:199], v[68:71]// 000000006108: D3D70044 0D138D26
	v_mfma_i32_16x16x32_i8 v[68:71], a[40:41], v[200:201], v[68:71]// 000000006110: D3D70044 0D139128
	buffer_load_dwordx4 a[12:15], v32, s[24:27], 0 offen offset:3072// 000000006118: E05C1C00 80860C20
	v_mfma_i32_16x16x32_i8 v[68:71], a[42:43], v[202:203], v[68:71]// 000000006120: D3D70044 0D13952A
	v_mfma_i32_16x16x32_i8 v[68:71], a[44:45], v[204:205], v[68:71]// 000000006128: D3D70044 0D13992C
	ds_read_b128 v[156:159], v2 offset:192                     // 000000006130: D9FE00C0 9C000002
	v_mfma_i32_16x16x32_i8 v[68:71], a[46:47], v[206:207], v[68:71]// 000000006138: D3D70044 0D139D2E
	v_mfma_i32_16x16x32_i8 v[72:75], a[48:49], v[176:177], v[72:75]// 000000006140: D3D70048 0D236130
	buffer_load_dwordx4 a[16:19], v33, s[24:27], 0 offen       // 000000006148: E05C1000 80861021
	v_mfma_i32_16x16x32_i8 v[72:75], a[50:51], v[178:179], v[72:75]// 000000006150: D3D70048 0D236532
	v_mfma_i32_16x16x32_i8 v[72:75], a[52:53], v[180:181], v[72:75]// 000000006158: D3D70048 0D236934
	ds_read_b128 v[160:163], v2 offset:1024                    // 000000006160: D9FE0400 A0000002
	v_mfma_i32_16x16x32_i8 v[72:75], a[54:55], v[182:183], v[72:75]// 000000006168: D3D70048 0D236D36
	v_mfma_i32_16x16x32_i8 v[72:75], a[56:57], v[184:185], v[72:75]// 000000006170: D3D70048 0D237138
	buffer_load_dwordx4 a[20:23], v33, s[24:27], 0 offen offset:1024// 000000006178: E05C1400 80861421
	v_mfma_i32_16x16x32_i8 v[72:75], a[58:59], v[186:187], v[72:75]// 000000006180: D3D70048 0D23753A
	v_mfma_i32_16x16x32_i8 v[72:75], a[60:61], v[188:189], v[72:75]// 000000006188: D3D70048 0D23793C
	ds_read_b128 v[164:167], v2 offset:1088                    // 000000006190: D9FE0440 A4000002
	v_mfma_i32_16x16x32_i8 v[72:75], a[62:63], v[190:191], v[72:75]// 000000006198: D3D70048 0D237D3E
	v_mfma_i32_16x16x32_i8 v[76:79], a[48:49], v[192:193], v[76:79]// 0000000061A0: D3D7004C 0D338130
	buffer_load_dwordx4 a[24:27], v33, s[24:27], 0 offen offset:2048// 0000000061A8: E05C1800 80861821
	v_mfma_i32_16x16x32_i8 v[76:79], a[50:51], v[194:195], v[76:79]// 0000000061B0: D3D7004C 0D338532
	v_mfma_i32_16x16x32_i8 v[76:79], a[52:53], v[196:197], v[76:79]// 0000000061B8: D3D7004C 0D338934
	ds_read_b128 v[168:171], v2 offset:1152                    // 0000000061C0: D9FE0480 A8000002
	v_mfma_i32_16x16x32_i8 v[76:79], a[54:55], v[198:199], v[76:79]// 0000000061C8: D3D7004C 0D338D36
	v_mfma_i32_16x16x32_i8 v[76:79], a[56:57], v[200:201], v[76:79]// 0000000061D0: D3D7004C 0D339138
	buffer_load_dwordx4 a[28:31], v33, s[24:27], 0 offen offset:3072// 0000000061D8: E05C1C00 80861C21
	v_mfma_i32_16x16x32_i8 v[76:79], a[58:59], v[202:203], v[76:79]// 0000000061E0: D3D7004C 0D33953A
	v_mfma_i32_16x16x32_i8 v[76:79], a[60:61], v[204:205], v[76:79]// 0000000061E8: D3D7004C 0D33993C
	ds_read_b128 v[172:175], v2 offset:1216                    // 0000000061F0: D9FE04C0 AC000002
	v_mfma_i32_16x16x32_i8 v[76:79], a[62:63], v[206:207], v[76:79]// 0000000061F8: D3D7004C 0D339D3E
	s_add_u32 s60, 0x200, s80                                  // 000000006200: 803C50FF 00000200
	s_cmp_lt_u32 s60, s81                                      // 000000006208: BF0A513C
	s_cselect_b32 s57, s57, 0                                  // 00000000620C: 85398039
	s_add_u32 s60, 0x200, s80                                  // 000000006210: 803C50FF 00000200
	s_cmp_lt_u32 s60, s81                                      // 000000006218: BF0A513C
	s_cselect_b32 s58, s58, 0                                  // 00000000621C: 853A803A
	s_add_u32 s20, s57, s20                                    // 000000006220: 80141439
	s_addc_u32 s21, 0, s21                                     // 000000006224: 82151580
	s_add_u32 s24, s58, s24                                    // 000000006228: 8018183A
	s_addc_u32 s25, 0, s25                                     // 00000000622C: 82191980
	s_add_u32 s92, s90, s92                                    // 000000006230: 805C5C5A
	s_addc_u32 s93, 0, s93                                     // 000000006234: 825D5D80
	s_addk_i32 s80, 0x100                                      // 000000006238: B7500100
	s_cmp_lt_i32 s80, s81                                      // 00000000623C: BF045150
	s_cbranch_scc0 label_0D12                                  // 000000006240: BF840001
	s_branch label_0B49                                        // 000000006244: BF82FE37

0000000000006248 <label_0D12>:
	s_mov_b32 s36, -1                                          // 000000006248: BEA400C1
	s_mov_b32 s37, -1                                          // 00000000624C: BEA500C1
	s_mov_b64 s[60:61], 0                                      // 000000006250: BEBC0180
	s_cmp_lt_u32 s82, s66                                      // 000000006254: BF0A4252
	s_cselect_b64 s[20:21], s[36:37], s[60:61]                 // 000000006258: 85943C24
	s_cmp_lt_u32 s83, s66                                      // 00000000625C: BF0A4253
	s_cselect_b64 s[22:23], s[36:37], s[60:61]                 // 000000006260: 85963C24
	s_cmp_lt_u32 s84, s66                                      // 000000006264: BF0A4254
	s_cselect_b64 s[24:25], s[36:37], s[60:61]                 // 000000006268: 85983C24
	s_cmp_lt_u32 s85, s66                                      // 00000000626C: BF0A4255
	s_cselect_b64 s[26:27], s[36:37], s[60:61]                 // 000000006270: 859A3C24
	s_cmp_lt_u32 s86, s66                                      // 000000006274: BF0A4256
	s_cselect_b64 s[28:29], s[36:37], s[60:61]                 // 000000006278: 859C3C24
	s_cmp_lt_u32 s87, s66                                      // 00000000627C: BF0A4257
	s_cselect_b64 s[30:31], s[36:37], s[60:61]                 // 000000006280: 859E3C24
	s_cmp_lt_u32 s88, s66                                      // 000000006284: BF0A4258
	s_cselect_b64 s[32:33], s[36:37], s[60:61]                 // 000000006288: 85A03C24
	s_cmp_lt_u32 s89, s66                                      // 00000000628C: BF0A4259
	s_cselect_b64 s[34:35], s[36:37], s[60:61]                 // 000000006290: 85A23C24
	v_cvt_f32_i32_e32 v128, v128                               // 000000006294: 7F000B80
	v_cvt_f32_i32_e32 v129, v129                               // 000000006298: 7F020B81
	v_cvt_f32_i32_e32 v130, v130                               // 00000000629C: 7F040B82
	v_cvt_f32_i32_e32 v131, v131                               // 0000000062A0: 7F060B83
	v_mul_f32_e32 v128, v13, v128                              // 0000000062A4: 0B01010D
	v_mul_f32_e32 v129, v13, v129                              // 0000000062A8: 0B03030D
	v_mul_f32_e32 v130, v13, v130                              // 0000000062AC: 0B05050D
	v_mul_f32_e32 v131, v13, v131                              // 0000000062B0: 0B07070D
	v_mul_f32_dpp v128, v15, v128 row_newbcast:0 row_mask:0xf bank_mask:0xf// 0000000062B4: 0B0100FA FF01500F
	v_mul_f32_dpp v129, v15, v129 row_newbcast:1 row_mask:0xf bank_mask:0xf// 0000000062BC: 0B0302FA FF01510F
	v_mul_f32_dpp v130, v15, v130 row_newbcast:2 row_mask:0xf bank_mask:0xf// 0000000062C4: 0B0504FA FF01520F
	v_mul_f32_dpp v131, v15, v131 row_newbcast:3 row_mask:0xf bank_mask:0xf// 0000000062CC: 0B0706FA FF01530F
	v_cvt_f32_i32_e32 v132, v132                               // 0000000062D4: 7F080B84
	v_cvt_f32_i32_e32 v133, v133                               // 0000000062D8: 7F0A0B85
	v_cvt_f32_i32_e32 v134, v134                               // 0000000062DC: 7F0C0B86
	v_cvt_f32_i32_e32 v135, v135                               // 0000000062E0: 7F0E0B87
	v_mul_f32_e32 v132, v14, v132                              // 0000000062E4: 0B09090E
	v_mul_f32_e32 v133, v14, v133                              // 0000000062E8: 0B0B0B0E
	v_mul_f32_e32 v134, v14, v134                              // 0000000062EC: 0B0D0D0E
	v_mul_f32_e32 v135, v14, v135                              // 0000000062F0: 0B0F0F0E
	v_mul_f32_dpp v132, v15, v132 row_newbcast:0 row_mask:0xf bank_mask:0xf// 0000000062F4: 0B0908FA FF01500F
	v_mul_f32_dpp v133, v15, v133 row_newbcast:1 row_mask:0xf bank_mask:0xf// 0000000062FC: 0B0B0AFA FF01510F
	v_mul_f32_dpp v134, v15, v134 row_newbcast:2 row_mask:0xf bank_mask:0xf// 000000006304: 0B0D0CFA FF01520F
	v_mul_f32_dpp v135, v15, v135 row_newbcast:3 row_mask:0xf bank_mask:0xf// 00000000630C: 0B0F0EFA FF01530F
	v_cvt_f32_i32_e32 v136, v136                               // 000000006314: 7F100B88
	v_cvt_f32_i32_e32 v137, v137                               // 000000006318: 7F120B89
	v_cvt_f32_i32_e32 v138, v138                               // 00000000631C: 7F140B8A
	v_cvt_f32_i32_e32 v139, v139                               // 000000006320: 7F160B8B
	v_mul_f32_e32 v136, v13, v136                              // 000000006324: 0B11110D
	v_mul_f32_e32 v137, v13, v137                              // 000000006328: 0B13130D
	v_mul_f32_e32 v138, v13, v138                              // 00000000632C: 0B15150D
	v_mul_f32_e32 v139, v13, v139                              // 000000006330: 0B17170D
	v_mul_f32_dpp v136, v15, v136 row_newbcast:4 row_mask:0xf bank_mask:0xf// 000000006334: 0B1110FA FF01540F
	v_mul_f32_dpp v137, v15, v137 row_newbcast:5 row_mask:0xf bank_mask:0xf// 00000000633C: 0B1312FA FF01550F
	v_mul_f32_dpp v138, v15, v138 row_newbcast:6 row_mask:0xf bank_mask:0xf// 000000006344: 0B1514FA FF01560F
	v_mul_f32_dpp v139, v15, v139 row_newbcast:7 row_mask:0xf bank_mask:0xf// 00000000634C: 0B1716FA FF01570F
	v_cvt_f32_i32_e32 v140, v140                               // 000000006354: 7F180B8C
	v_cvt_f32_i32_e32 v141, v141                               // 000000006358: 7F1A0B8D
	v_cvt_f32_i32_e32 v142, v142                               // 00000000635C: 7F1C0B8E
	v_cvt_f32_i32_e32 v143, v143                               // 000000006360: 7F1E0B8F
	v_mul_f32_e32 v140, v14, v140                              // 000000006364: 0B19190E
	v_mul_f32_e32 v141, v14, v141                              // 000000006368: 0B1B1B0E
	v_mul_f32_e32 v142, v14, v142                              // 00000000636C: 0B1D1D0E
	v_mul_f32_e32 v143, v14, v143                              // 000000006370: 0B1F1F0E
	v_mul_f32_dpp v140, v15, v140 row_newbcast:4 row_mask:0xf bank_mask:0xf// 000000006374: 0B1918FA FF01540F
	v_mul_f32_dpp v141, v15, v141 row_newbcast:5 row_mask:0xf bank_mask:0xf// 00000000637C: 0B1B1AFA FF01550F
	v_mul_f32_dpp v142, v15, v142 row_newbcast:6 row_mask:0xf bank_mask:0xf// 000000006384: 0B1D1CFA FF01560F
	v_mul_f32_dpp v143, v15, v143 row_newbcast:7 row_mask:0xf bank_mask:0xf// 00000000638C: 0B1F1EFA FF01570F
	v_cvt_f32_i32_e32 v64, v64                                 // 000000006394: 7E800B40
	v_cvt_f32_i32_e32 v65, v65                                 // 000000006398: 7E820B41
	v_cvt_f32_i32_e32 v66, v66                                 // 00000000639C: 7E840B42
	v_cvt_f32_i32_e32 v67, v67                                 // 0000000063A0: 7E860B43
	v_mul_f32_e32 v64, v13, v64                                // 0000000063A4: 0A80810D
	v_mul_f32_e32 v65, v13, v65                                // 0000000063A8: 0A82830D
	v_mul_f32_e32 v66, v13, v66                                // 0000000063AC: 0A84850D
	v_mul_f32_e32 v67, v13, v67                                // 0000000063B0: 0A86870D
	v_mul_f32_dpp v64, v42, v64 row_newbcast:0 row_mask:0xf bank_mask:0xf// 0000000063B4: 0A8080FA FF01502A
	v_mul_f32_dpp v65, v42, v65 row_newbcast:1 row_mask:0xf bank_mask:0xf// 0000000063BC: 0A8282FA FF01512A
	v_mul_f32_dpp v66, v42, v66 row_newbcast:2 row_mask:0xf bank_mask:0xf// 0000000063C4: 0A8484FA FF01522A
	v_mul_f32_dpp v67, v42, v67 row_newbcast:3 row_mask:0xf bank_mask:0xf// 0000000063CC: 0A8686FA FF01532A
	v_cvt_f32_i32_e32 v68, v68                                 // 0000000063D4: 7E880B44
	v_cvt_f32_i32_e32 v69, v69                                 // 0000000063D8: 7E8A0B45
	v_cvt_f32_i32_e32 v70, v70                                 // 0000000063DC: 7E8C0B46
	v_cvt_f32_i32_e32 v71, v71                                 // 0000000063E0: 7E8E0B47
	v_mul_f32_e32 v68, v14, v68                                // 0000000063E4: 0A88890E
	v_mul_f32_e32 v69, v14, v69                                // 0000000063E8: 0A8A8B0E
	v_mul_f32_e32 v70, v14, v70                                // 0000000063EC: 0A8C8D0E
	v_mul_f32_e32 v71, v14, v71                                // 0000000063F0: 0A8E8F0E
	v_mul_f32_dpp v68, v42, v68 row_newbcast:0 row_mask:0xf bank_mask:0xf// 0000000063F4: 0A8888FA FF01502A
	v_mul_f32_dpp v69, v42, v69 row_newbcast:1 row_mask:0xf bank_mask:0xf// 0000000063FC: 0A8A8AFA FF01512A
	v_mul_f32_dpp v70, v42, v70 row_newbcast:2 row_mask:0xf bank_mask:0xf// 000000006404: 0A8C8CFA FF01522A
	v_mul_f32_dpp v71, v42, v71 row_newbcast:3 row_mask:0xf bank_mask:0xf// 00000000640C: 0A8E8EFA FF01532A
	v_cvt_f32_i32_e32 v72, v72                                 // 000000006414: 7E900B48
	v_cvt_f32_i32_e32 v73, v73                                 // 000000006418: 7E920B49
	v_cvt_f32_i32_e32 v74, v74                                 // 00000000641C: 7E940B4A
	v_cvt_f32_i32_e32 v75, v75                                 // 000000006420: 7E960B4B
	v_mul_f32_e32 v72, v13, v72                                // 000000006424: 0A90910D
	v_mul_f32_e32 v73, v13, v73                                // 000000006428: 0A92930D
	v_mul_f32_e32 v74, v13, v74                                // 00000000642C: 0A94950D
	v_mul_f32_e32 v75, v13, v75                                // 000000006430: 0A96970D
	v_mul_f32_dpp v72, v42, v72 row_newbcast:4 row_mask:0xf bank_mask:0xf// 000000006434: 0A9090FA FF01542A
	v_mul_f32_dpp v73, v42, v73 row_newbcast:5 row_mask:0xf bank_mask:0xf// 00000000643C: 0A9292FA FF01552A
	v_mul_f32_dpp v74, v42, v74 row_newbcast:6 row_mask:0xf bank_mask:0xf// 000000006444: 0A9494FA FF01562A
	v_mul_f32_dpp v75, v42, v75 row_newbcast:7 row_mask:0xf bank_mask:0xf// 00000000644C: 0A9696FA FF01572A
	v_cvt_f32_i32_e32 v76, v76                                 // 000000006454: 7E980B4C
	v_cvt_f32_i32_e32 v77, v77                                 // 000000006458: 7E9A0B4D
	v_cvt_f32_i32_e32 v78, v78                                 // 00000000645C: 7E9C0B4E
	v_cvt_f32_i32_e32 v79, v79                                 // 000000006460: 7E9E0B4F
	v_mul_f32_e32 v76, v14, v76                                // 000000006464: 0A98990E
	v_mul_f32_e32 v77, v14, v77                                // 000000006468: 0A9A9B0E
	v_mul_f32_e32 v78, v14, v78                                // 00000000646C: 0A9C9D0E
	v_mul_f32_e32 v79, v14, v79                                // 000000006470: 0A9E9F0E
	v_mul_f32_dpp v76, v42, v76 row_newbcast:4 row_mask:0xf bank_mask:0xf// 000000006474: 0A9898FA FF01542A
	v_mul_f32_dpp v77, v42, v77 row_newbcast:5 row_mask:0xf bank_mask:0xf// 00000000647C: 0A9A9AFA FF01552A
	v_mul_f32_dpp v78, v42, v78 row_newbcast:6 row_mask:0xf bank_mask:0xf// 000000006484: 0A9C9CFA FF01562A
	v_mul_f32_dpp v79, v42, v79 row_newbcast:7 row_mask:0xf bank_mask:0xf// 00000000648C: 0A9E9EFA FF01572A
	s_waitcnt vmcnt(4)                                         // 000000006494: BF8C0F74
	buffer_load_dwordx4 a[0:3], v34, s[12:15], 0 offen         // 000000006498: E05C1000 80830022
	v_mul_f32_e64 v44, -v128, s6                               // 0000000064A0: D105002C 20000D80
	v_mul_f32_e64 v45, -v129, s6                               // 0000000064A8: D105002D 20000D81
	v_mul_f32_e64 v46, -v130, s6                               // 0000000064B0: D105002E 20000D82
	v_mul_f32_e64 v47, -v131, s6                               // 0000000064B8: D105002F 20000D83
	v_exp_f32_e32 v44, v44                                     // 0000000064C0: 7E58412C
	v_exp_f32_e32 v45, v45                                     // 0000000064C4: 7E5A412D
	v_exp_f32_e32 v46, v46                                     // 0000000064C8: 7E5C412E
	v_exp_f32_e32 v47, v47                                     // 0000000064CC: 7E5E412F
	buffer_load_dwordx4 a[4:7], v35, s[12:15], 0 offen         // 0000000064D0: E05C1000 80830423
	v_add_f32_e64 v44, v44, 1.0                                // 0000000064D8: D101002C 0001E52C
	v_add_f32_e64 v45, v45, 1.0                                // 0000000064E0: D101002D 0001E52D
	v_add_f32_e64 v46, v46, 1.0                                // 0000000064E8: D101002E 0001E52E
	v_add_f32_e64 v47, v47, 1.0                                // 0000000064F0: D101002F 0001E52F
	v_rcp_f32_e32 v44, v44                                     // 0000000064F8: 7E58452C
	v_rcp_f32_e32 v45, v45                                     // 0000000064FC: 7E5A452D
	v_rcp_f32_e32 v46, v46                                     // 000000006500: 7E5C452E
	v_rcp_f32_e32 v47, v47                                     // 000000006504: 7E5E452F
	v_mul_f32_e32 v128, v128, v44                              // 000000006508: 0B005980
	v_mul_f32_e32 v129, v129, v45                              // 00000000650C: 0B025B81
	v_mul_f32_e32 v130, v130, v46                              // 000000006510: 0B045D82
	v_mul_f32_e32 v131, v131, v47                              // 000000006514: 0B065F83
	v_mul_f32_e32 v128, v128, v64                              // 000000006518: 0B008180
	v_mul_f32_e32 v129, v129, v65                              // 00000000651C: 0B028381
	v_mul_f32_e32 v130, v130, v66                              // 000000006520: 0B048582
	v_mul_f32_e32 v131, v131, v67                              // 000000006524: 0B068783
	buffer_load_dwordx4 a[8:11], v36, s[12:15], 0 offen        // 000000006528: E05C1000 80830824
	v_mul_f32_e64 v44, -v132, s6                               // 000000006530: D105002C 20000D84
	v_mul_f32_e64 v45, -v133, s6                               // 000000006538: D105002D 20000D85
	v_mul_f32_e64 v46, -v134, s6                               // 000000006540: D105002E 20000D86
	v_mul_f32_e64 v47, -v135, s6                               // 000000006548: D105002F 20000D87
	v_exp_f32_e32 v44, v44                                     // 000000006550: 7E58412C
	v_exp_f32_e32 v45, v45                                     // 000000006554: 7E5A412D
	v_exp_f32_e32 v46, v46                                     // 000000006558: 7E5C412E
	v_exp_f32_e32 v47, v47                                     // 00000000655C: 7E5E412F
	buffer_load_dwordx4 a[12:15], v37, s[12:15], 0 offen       // 000000006560: E05C1000 80830C25
	s_add_u32 s12, s78, s12                                    // 000000006568: 800C0C4E
	s_addc_u32 s13, 0, s13                                     // 00000000656C: 820D0D80
	v_add_f32_e64 v44, v44, 1.0                                // 000000006570: D101002C 0001E52C
	v_add_f32_e64 v45, v45, 1.0                                // 000000006578: D101002D 0001E52D
	v_add_f32_e64 v46, v46, 1.0                                // 000000006580: D101002E 0001E52E
	v_add_f32_e64 v47, v47, 1.0                                // 000000006588: D101002F 0001E52F
	v_rcp_f32_e32 v44, v44                                     // 000000006590: 7E58452C
	v_rcp_f32_e32 v45, v45                                     // 000000006594: 7E5A452D
	v_rcp_f32_e32 v46, v46                                     // 000000006598: 7E5C452E
	v_rcp_f32_e32 v47, v47                                     // 00000000659C: 7E5E452F
	v_mul_f32_e32 v132, v132, v44                              // 0000000065A0: 0B085984
	v_mul_f32_e32 v133, v133, v45                              // 0000000065A4: 0B0A5B85
	v_mul_f32_e32 v134, v134, v46                              // 0000000065A8: 0B0C5D86
	v_mul_f32_e32 v135, v135, v47                              // 0000000065AC: 0B0E5F87
	v_mul_f32_e32 v132, v132, v68                              // 0000000065B0: 0B088984
	v_mul_f32_e32 v133, v133, v69                              // 0000000065B4: 0B0A8B85
	v_mul_f32_e32 v134, v134, v70                              // 0000000065B8: 0B0C8D86
	v_mul_f32_e32 v135, v135, v71                              // 0000000065BC: 0B0E8F87
	s_waitcnt vmcnt(4)                                         // 0000000065C0: BF8C0F74
	buffer_load_dwordx4 a[16:19], v34, s[12:15], 0 offen       // 0000000065C4: E05C1000 80831022
	v_mul_f32_e64 v44, -v136, s6                               // 0000000065CC: D105002C 20000D88
	v_mul_f32_e64 v45, -v137, s6                               // 0000000065D4: D105002D 20000D89
	v_mul_f32_e64 v46, -v138, s6                               // 0000000065DC: D105002E 20000D8A
	v_mul_f32_e64 v47, -v139, s6                               // 0000000065E4: D105002F 20000D8B
	v_exp_f32_e32 v44, v44                                     // 0000000065EC: 7E58412C
	v_exp_f32_e32 v45, v45                                     // 0000000065F0: 7E5A412D
	v_exp_f32_e32 v46, v46                                     // 0000000065F4: 7E5C412E
	v_exp_f32_e32 v47, v47                                     // 0000000065F8: 7E5E412F
	buffer_load_dwordx4 a[20:23], v35, s[12:15], 0 offen       // 0000000065FC: E05C1000 80831423
	v_add_f32_e64 v44, v44, 1.0                                // 000000006604: D101002C 0001E52C
	v_add_f32_e64 v45, v45, 1.0                                // 00000000660C: D101002D 0001E52D
	v_add_f32_e64 v46, v46, 1.0                                // 000000006614: D101002E 0001E52E
	v_add_f32_e64 v47, v47, 1.0                                // 00000000661C: D101002F 0001E52F
	v_rcp_f32_e32 v44, v44                                     // 000000006624: 7E58452C
	v_rcp_f32_e32 v45, v45                                     // 000000006628: 7E5A452D
	v_rcp_f32_e32 v46, v46                                     // 00000000662C: 7E5C452E
	v_rcp_f32_e32 v47, v47                                     // 000000006630: 7E5E452F
	v_mul_f32_e32 v136, v136, v44                              // 000000006634: 0B105988
	v_mul_f32_e32 v137, v137, v45                              // 000000006638: 0B125B89
	v_mul_f32_e32 v138, v138, v46                              // 00000000663C: 0B145D8A
	v_mul_f32_e32 v139, v139, v47                              // 000000006640: 0B165F8B
	v_mul_f32_e32 v136, v136, v72                              // 000000006644: 0B109188
	v_mul_f32_e32 v137, v137, v73                              // 000000006648: 0B129389
	v_mul_f32_e32 v138, v138, v74                              // 00000000664C: 0B14958A
	v_mul_f32_e32 v139, v139, v75                              // 000000006650: 0B16978B
	buffer_load_dwordx4 a[24:27], v36, s[12:15], 0 offen       // 000000006654: E05C1000 80831824
	v_mul_f32_e64 v44, -v140, s6                               // 00000000665C: D105002C 20000D8C
	v_mul_f32_e64 v45, -v141, s6                               // 000000006664: D105002D 20000D8D
	v_mul_f32_e64 v46, -v142, s6                               // 00000000666C: D105002E 20000D8E
	v_mul_f32_e64 v47, -v143, s6                               // 000000006674: D105002F 20000D8F
	v_exp_f32_e32 v44, v44                                     // 00000000667C: 7E58412C
	v_exp_f32_e32 v45, v45                                     // 000000006680: 7E5A412D
	v_exp_f32_e32 v46, v46                                     // 000000006684: 7E5C412E
	v_exp_f32_e32 v47, v47                                     // 000000006688: 7E5E412F
	buffer_load_dwordx4 a[28:31], v37, s[12:15], 0 offen       // 00000000668C: E05C1000 80831C25
	v_add_f32_e64 v44, v44, 1.0                                // 000000006694: D101002C 0001E52C
	v_add_f32_e64 v45, v45, 1.0                                // 00000000669C: D101002D 0001E52D
	v_add_f32_e64 v46, v46, 1.0                                // 0000000066A4: D101002E 0001E52E
	v_add_f32_e64 v47, v47, 1.0                                // 0000000066AC: D101002F 0001E52F
	v_rcp_f32_e32 v44, v44                                     // 0000000066B4: 7E58452C
	v_rcp_f32_e32 v45, v45                                     // 0000000066B8: 7E5A452D
	v_rcp_f32_e32 v46, v46                                     // 0000000066BC: 7E5C452E
	v_rcp_f32_e32 v47, v47                                     // 0000000066C0: 7E5E452F
	v_mul_f32_e32 v140, v140, v44                              // 0000000066C4: 0B18598C
	v_mul_f32_e32 v141, v141, v45                              // 0000000066C8: 0B1A5B8D
	v_mul_f32_e32 v142, v142, v46                              // 0000000066CC: 0B1C5D8E
	v_mul_f32_e32 v143, v143, v47                              // 0000000066D0: 0B1E5F8F
	v_mul_f32_e32 v140, v140, v76                              // 0000000066D4: 0B18998C
	v_mul_f32_e32 v141, v141, v77                              // 0000000066D8: 0B1A9B8D
	v_mul_f32_e32 v142, v142, v78                              // 0000000066DC: 0B1C9D8E
	v_mul_f32_e32 v143, v143, v79                              // 0000000066E0: 0B1E9F8F
	v_mul_f32_dpp v128, v16, v128 row_newbcast:0 row_mask:0xf bank_mask:0xf// 0000000066E4: 0B0100FA FF015010
	v_mul_f32_dpp v129, v16, v129 row_newbcast:1 row_mask:0xf bank_mask:0xf// 0000000066EC: 0B0302FA FF015110
	v_mul_f32_dpp v130, v16, v130 row_newbcast:2 row_mask:0xf bank_mask:0xf// 0000000066F4: 0B0504FA FF015210
	v_mul_f32_dpp v131, v16, v131 row_newbcast:3 row_mask:0xf bank_mask:0xf// 0000000066FC: 0B0706FA FF015310
	v_mul_f32_dpp v132, v16, v132 row_newbcast:0 row_mask:0xf bank_mask:0xf// 000000006704: 0B0908FA FF015010
	v_mul_f32_dpp v133, v16, v133 row_newbcast:1 row_mask:0xf bank_mask:0xf// 00000000670C: 0B0B0AFA FF015110
	v_mul_f32_dpp v134, v16, v134 row_newbcast:2 row_mask:0xf bank_mask:0xf// 000000006714: 0B0D0CFA FF015210
	v_mul_f32_dpp v135, v16, v135 row_newbcast:3 row_mask:0xf bank_mask:0xf// 00000000671C: 0B0F0EFA FF015310
	v_mul_f32_dpp v136, v16, v136 row_newbcast:4 row_mask:0xf bank_mask:0xf// 000000006724: 0B1110FA FF015410
	v_mul_f32_dpp v137, v16, v137 row_newbcast:5 row_mask:0xf bank_mask:0xf// 00000000672C: 0B1312FA FF015510
	v_mul_f32_dpp v138, v16, v138 row_newbcast:6 row_mask:0xf bank_mask:0xf// 000000006734: 0B1514FA FF015610
	v_mul_f32_dpp v139, v16, v139 row_newbcast:7 row_mask:0xf bank_mask:0xf// 00000000673C: 0B1716FA FF015710
	v_mul_f32_dpp v140, v16, v140 row_newbcast:4 row_mask:0xf bank_mask:0xf// 000000006744: 0B1918FA FF015410
	v_mul_f32_dpp v141, v16, v141 row_newbcast:5 row_mask:0xf bank_mask:0xf// 00000000674C: 0B1B1AFA FF015510
	v_mul_f32_dpp v142, v16, v142 row_newbcast:6 row_mask:0xf bank_mask:0xf// 000000006754: 0B1D1CFA FF015610
	v_mul_f32_dpp v143, v16, v143 row_newbcast:7 row_mask:0xf bank_mask:0xf// 00000000675C: 0B1F1EFA FF015710
	v_lshlrev_b32_e32 v44, 2, v0                               // 000000006764: 24580082
	s_mul_i32 s60, s82, s71                                    // 000000006768: 923C4752
	v_add_u32_e64 v80, v44, s60                                // 00000000676C: D1340050 0000792C
	v_mov_b32_e32 v81, 0                                       // 000000006774: 7EA20280
	s_mul_i32 s60, s83, s71                                    // 000000006778: 923C4753
	v_add_u32_e64 v82, v44, s60                                // 00000000677C: D1340052 0000792C
	v_mov_b32_e32 v83, 0                                       // 000000006784: 7EA60280
	s_mul_i32 s60, s84, s71                                    // 000000006788: 923C4754
	v_add_u32_e64 v84, v44, s60                                // 00000000678C: D1340054 0000792C
	v_mov_b32_e32 v85, 0                                       // 000000006794: 7EAA0280
	s_mul_i32 s60, s85, s71                                    // 000000006798: 923C4755
	v_add_u32_e64 v86, v44, s60                                // 00000000679C: D1340056 0000792C
	v_mov_b32_e32 v87, 0                                       // 0000000067A4: 7EAE0280
	s_mul_i32 s60, s86, s71                                    // 0000000067A8: 923C4756
	v_add_u32_e64 v88, v44, s60                                // 0000000067AC: D1340058 0000792C
	v_mov_b32_e32 v89, 0                                       // 0000000067B4: 7EB20280
	s_mul_i32 s60, s87, s71                                    // 0000000067B8: 923C4757
	v_add_u32_e64 v90, v44, s60                                // 0000000067BC: D134005A 0000792C
	v_mov_b32_e32 v91, 0                                       // 0000000067C4: 7EB60280
	s_mul_i32 s60, s88, s71                                    // 0000000067C8: 923C4758
	v_add_u32_e64 v92, v44, s60                                // 0000000067CC: D134005C 0000792C
	v_mov_b32_e32 v93, 0                                       // 0000000067D4: 7EBA0280
	s_mul_i32 s60, s89, s71                                    // 0000000067D8: 923C4759
	v_add_u32_e64 v94, v44, s60                                // 0000000067DC: D134005E 0000792C
	v_mov_b32_e32 v95, 0                                       // 0000000067E4: 7EBE0280
	buffer_load_dword v11, v5, s[16:19], 0 offen               // 0000000067E8: E0501000 80040B05
	v_mov_b32_e32 v20, 0x358637bd                              // 0000000067F0: 7E2802FF 358637BD
	v_mov_b32_e32 v21, 0x358637bd                              // 0000000067F8: 7E2A02FF 358637BD
	v_max3_f32 v20, |v128|, |v129|, v20                        // 000000006800: D1D30314 04530380
	v_max3_f32 v20, |v130|, |v131|, v20                        // 000000006808: D1D30314 04530782
	v_max3_f32 v21, |v132|, |v133|, v21                        // 000000006810: D1D30315 04570B84
	v_max3_f32 v21, |v134|, |v135|, v21                        // 000000006818: D1D30315 04570F86
	v_max3_f32 v20, |v136|, |v137|, v20                        // 000000006820: D1D30314 04531388
	v_max3_f32 v20, |v138|, |v139|, v20                        // 000000006828: D1D30314 0453178A
	v_max3_f32 v21, |v140|, |v141|, v21                        // 000000006830: D1D30315 04571B8C
	v_max3_f32 v21, |v142|, |v143|, v21                        // 000000006838: D1D30315 04571F8E
	v_lshlrev_b32_e32 v44, 3, v0                               // 000000006840: 24580083
	s_mul_i32 s60, 0x200, s7                                   // 000000006844: 923C07FF 00000200
	v_add_u32_e32 v44, s60, v44                                // 00000000684C: 6858583C
	ds_write_b64 v44, v[20:21] offset:16640                    // 000000006850: D89A4100 0000142C
	s_waitcnt lgkmcnt(0)                                       // 000000006858: BF8CC07F
	s_barrier                                                  // 00000000685C: BF8A0000
	v_and_b32_e32 v44, 15, v0                                  // 000000006860: 2658008F
	v_lshlrev_b32_e32 v44, 3, v44                              // 000000006864: 24585883
	ds_read_b64 v[96:97], v44 offset:16640                     // 000000006868: D8EC4100 6000002C
	ds_read_b64 v[98:99], v44 offset:16768                     // 000000006870: D8EC4180 6200002C
	ds_read_b64 v[100:101], v44 offset:16896                   // 000000006878: D8EC4200 6400002C
	ds_read_b64 v[102:103], v44 offset:17024                   // 000000006880: D8EC4280 6600002C
	ds_read_b64 v[104:105], v44 offset:17152                   // 000000006888: D8EC4300 6800002C
	ds_read_b64 v[106:107], v44 offset:17280                   // 000000006890: D8EC4380 6A00002C
	ds_read_b64 v[108:109], v44 offset:17408                   // 000000006898: D8EC4400 6C00002C
	ds_read_b64 v[110:111], v44 offset:17536                   // 0000000068A0: D8EC4480 6E00002C
	ds_read_b64 v[112:113], v44 offset:17664                   // 0000000068A8: D8EC4500 7000002C
	ds_read_b64 v[114:115], v44 offset:17792                   // 0000000068B0: D8EC4580 7200002C
	ds_read_b64 v[116:117], v44 offset:17920                   // 0000000068B8: D8EC4600 7400002C
	ds_read_b64 v[118:119], v44 offset:18048                   // 0000000068C0: D8EC4680 7600002C
	ds_read_b64 v[120:121], v44 offset:18176                   // 0000000068C8: D8EC4700 7800002C
	ds_read_b64 v[122:123], v44 offset:18304                   // 0000000068D0: D8EC4780 7A00002C
	ds_read_b64 v[124:125], v44 offset:18432                   // 0000000068D8: D8EC4800 7C00002C
	ds_read_b64 v[126:127], v44 offset:18560                   // 0000000068E0: D8EC4880 7E00002C
	s_waitcnt lgkmcnt(0)                                       // 0000000068E8: BF8CC07F
	v_max3_f32 v20, |v96|, |v98|, v20                          // 0000000068EC: D1D30314 0452C560
	v_max3_f32 v21, |v97|, |v99|, v21                          // 0000000068F4: D1D30315 0456C761
	v_max3_f32 v20, |v100|, |v102|, v20                        // 0000000068FC: D1D30314 0452CD64
	v_max3_f32 v21, |v101|, |v103|, v21                        // 000000006904: D1D30315 0456CF65
	v_max3_f32 v20, |v104|, |v106|, v20                        // 00000000690C: D1D30314 0452D568
	v_max3_f32 v21, |v105|, |v107|, v21                        // 000000006914: D1D30315 0456D769
	v_max3_f32 v20, |v108|, |v110|, v20                        // 00000000691C: D1D30314 0452DD6C
	v_max3_f32 v21, |v109|, |v111|, v21                        // 000000006924: D1D30315 0456DF6D
	v_max3_f32 v20, |v112|, |v114|, v20                        // 00000000692C: D1D30314 0452E570
	v_max3_f32 v21, |v113|, |v115|, v21                        // 000000006934: D1D30315 0456E771
	v_max3_f32 v20, |v116|, |v118|, v20                        // 00000000693C: D1D30314 0452ED74
	v_max3_f32 v21, |v117|, |v119|, v21                        // 000000006944: D1D30315 0456EF75
	v_max3_f32 v20, |v120|, |v122|, v20                        // 00000000694C: D1D30314 0452F578
	v_max3_f32 v21, |v121|, |v123|, v21                        // 000000006954: D1D30315 0456F779
	v_max3_f32 v20, |v124|, |v126|, v20                        // 00000000695C: D1D30314 0452FD7C
	v_max3_f32 v21, |v125|, |v127|, v21                        // 000000006964: D1D30315 0456FF7D
	v_rcp_f32_e32 v20, v20                                     // 00000000696C: 7E284514
	v_rcp_f32_e32 v21, v21                                     // 000000006970: 7E2A4515
	v_mul_f32_e32 v20, 0x42fe0000, v20                         // 000000006974: 0A2828FF 42FE0000
	v_mul_f32_e32 v21, 0x42fe0000, v21                         // 00000000697C: 0A2A2AFF 42FE0000
	v_mul_f32_e32 v128, v20, v128                              // 000000006984: 0B010114
	v_mul_f32_e32 v129, v20, v129                              // 000000006988: 0B030314
	v_mul_f32_e32 v130, v20, v130                              // 00000000698C: 0B050514
	v_mul_f32_e32 v131, v20, v131                              // 000000006990: 0B070714
	v_cvt_i32_f32_e32 v128, v128                               // 000000006994: 7F001180
	v_cvt_i32_f32_e32 v129, v129                               // 000000006998: 7F021181
	v_cvt_i32_f32_e32 v130, v130                               // 00000000699C: 7F041182
	v_cvt_i32_f32_e32 v131, v131                               // 0000000069A0: 7F061183
	v_perm_b32 v128, v129, v128, s53                           // 0000000069A4: D1ED0080 00D70181
	v_perm_b32 v128, v130, v128, s54                           // 0000000069AC: D1ED0080 00DB0182
	v_perm_b32 v128, v131, v128, s55                           // 0000000069B4: D1ED0080 00DF0183
	v_mul_f32_e32 v132, v21, v132                              // 0000000069BC: 0B090915
	v_mul_f32_e32 v133, v21, v133                              // 0000000069C0: 0B0B0B15
	v_mul_f32_e32 v134, v21, v134                              // 0000000069C4: 0B0D0D15
	v_mul_f32_e32 v135, v21, v135                              // 0000000069C8: 0B0F0F15
	v_cvt_i32_f32_e32 v132, v132                               // 0000000069CC: 7F081184
	v_cvt_i32_f32_e32 v133, v133                               // 0000000069D0: 7F0A1185
	v_cvt_i32_f32_e32 v134, v134                               // 0000000069D4: 7F0C1186
	v_cvt_i32_f32_e32 v135, v135                               // 0000000069D8: 7F0E1187
	v_perm_b32 v129, v133, v132, s53                           // 0000000069DC: D1ED0081 00D70985
	v_perm_b32 v129, v134, v129, s54                           // 0000000069E4: D1ED0081 00DB0386
	v_perm_b32 v129, v135, v129, s55                           // 0000000069EC: D1ED0081 00DF0387
	v_mul_f32_e32 v136, v20, v136                              // 0000000069F4: 0B111114
	v_mul_f32_e32 v137, v20, v137                              // 0000000069F8: 0B131314
	v_mul_f32_e32 v138, v20, v138                              // 0000000069FC: 0B151514
	v_mul_f32_e32 v139, v20, v139                              // 000000006A00: 0B171714
	v_cvt_i32_f32_e32 v136, v136                               // 000000006A04: 7F101188
	v_cvt_i32_f32_e32 v137, v137                               // 000000006A08: 7F121189
	v_cvt_i32_f32_e32 v138, v138                               // 000000006A0C: 7F14118A
	v_cvt_i32_f32_e32 v139, v139                               // 000000006A10: 7F16118B
	v_perm_b32 v130, v137, v136, s53                           // 000000006A14: D1ED0082 00D71189
	v_perm_b32 v130, v138, v130, s54                           // 000000006A1C: D1ED0082 00DB058A
	v_perm_b32 v130, v139, v130, s55                           // 000000006A24: D1ED0082 00DF058B
	v_mul_f32_e32 v140, v21, v140                              // 000000006A2C: 0B191915
	v_mul_f32_e32 v141, v21, v141                              // 000000006A30: 0B1B1B15
	v_mul_f32_e32 v142, v21, v142                              // 000000006A34: 0B1D1D15
	v_mul_f32_e32 v143, v21, v143                              // 000000006A38: 0B1F1F15
	v_cvt_i32_f32_e32 v140, v140                               // 000000006A3C: 7F18118C
	v_cvt_i32_f32_e32 v141, v141                               // 000000006A40: 7F1A118D
	v_cvt_i32_f32_e32 v142, v142                               // 000000006A44: 7F1C118E
	v_cvt_i32_f32_e32 v143, v143                               // 000000006A48: 7F1E118F
	v_perm_b32 v131, v141, v140, s53                           // 000000006A4C: D1ED0083 00D7198D
	v_perm_b32 v131, v142, v131, s54                           // 000000006A54: D1ED0083 00DB078E
	v_perm_b32 v131, v143, v131, s55                           // 000000006A5C: D1ED0083 00DF078F
	v_rcp_f32_e32 v22, v20                                     // 000000006A64: 7E2C4514
	v_rcp_f32_e32 v23, v21                                     // 000000006A68: 7E2E4515
	v_lshrrev_b32_e32 v44, 5, v0                               // 000000006A6C: 20580085
	v_lshlrev_b32_e32 v45, 5, v44                              // 000000006A70: 245A5885
	v_and_b32_e32 v44, 31, v0                                  // 000000006A74: 2658009F
	v_lshrrev_b32_e32 v46, 4, v44                              // 000000006A78: 205C5884
	v_add_u32_e32 v45, v46, v45                                // 000000006A7C: 685A5B2E
	v_and_b32_e32 v44, 15, v0                                  // 000000006A80: 2658008F
	v_lshlrev_b32_e32 v44, 1, v44                              // 000000006A84: 24585881
	v_add_u32_e32 v45, v44, v45                                // 000000006A88: 685A5B2C
	v_lshlrev_b32_e32 v44, 2, v45                              // 000000006A8C: 24585A82
	s_mul_i32 s60, 0x100, s7                                   // 000000006A90: 923C07FF 00000100
	v_add_u32_e64 v44, v44, s60                                // 000000006A98: D134002C 0000792C
	ds_write_b32 v44, v128 offset:18688                        // 000000006AA0: D81A4900 0000802C
	ds_write_b32 v44, v129 offset:20736                        // 000000006AA8: D81A5100 0000812C
	ds_write_b32 v44, v130 offset:19712                        // 000000006AB0: D81A4D00 0000822C
	ds_write_b32 v44, v131 offset:21760                        // 000000006AB8: D81A5500 0000832C
	s_waitcnt lgkmcnt(0)                                       // 000000006AC0: BF8CC07F
	s_barrier                                                  // 000000006AC4: BF8A0000
	v_lshrrev_b32_e32 v44, 4, v0                               // 000000006AC8: 20580084
	v_lshlrev_b32_e32 v45, 6, v44                              // 000000006ACC: 245A5886
	v_and_b32_e32 v44, 15, v0                                  // 000000006AD0: 2658008F
	v_lshlrev_b32_e32 v44, 1, v44                              // 000000006AD4: 24585881
	v_add_u32_e32 v45, v44, v45                                // 000000006AD8: 685A5B2C
	v_lshlrev_b32_e32 v44, 2, v45                              // 000000006ADC: 24585A82
	ds_read_b64 v[128:129], v44 offset:18688                   // 000000006AE0: D8EC4900 8000002C
	ds_read_b64 v[130:131], v44 offset:18816                   // 000000006AE8: D8EC4980 8200002C
	ds_read_b64 v[132:133], v44 offset:19712                   // 000000006AF0: D8EC4D00 8400002C
	ds_read_b64 v[134:135], v44 offset:19840                   // 000000006AF8: D8EC4D80 8600002C
	ds_read_b64 v[136:137], v44 offset:20736                   // 000000006B00: D8EC5100 8800002C
	ds_read_b64 v[138:139], v44 offset:20864                   // 000000006B08: D8EC5180 8A00002C
	ds_read_b64 v[140:141], v44 offset:21760                   // 000000006B10: D8EC5500 8C00002C
	ds_read_b64 v[142:143], v44 offset:21888                   // 000000006B18: D8EC5580 8E00002C
	s_add_u32 s12, s56, s12                                    // 000000006B20: 800C0C38
	s_addc_u32 s13, 0, s13                                     // 000000006B24: 820D0D80
	s_add_u32 s16, s79, s16                                    // 000000006B28: 8010104F
	s_addc_u32 s17, 0, s17                                     // 000000006B2C: 82111180
	s_mov_b32 s80, 0                                           // 000000006B30: BED00080
	s_waitcnt vmcnt(0) expcnt(0) lgkmcnt(0)                    // 000000006B34: BF8C0000

0000000000006b38 <label_0F4E>:
	s_waitcnt vmcnt(21)                                        // 000000006B38: BF8C4F75
	s_barrier                                                  // 000000006B3C: BF8A0000
	v_mfma_i32_16x16x32_i8 v[144:147], a[0:1], v[128:129], 0   // 000000006B40: D3D70090 0A030100
	buffer_load_dwordx4 a[32:35], v34, s[12:15], 0 offen       // 000000006B48: E05C1000 80832022
	v_mfma_i32_16x16x32_i8 v[144:147], a[2:3], v[130:131], v[144:147]// 000000006B50: D3D70090 0E430502
	v_mfma_i32_16x16x32_i8 v[148:151], a[0:1], v[136:137], 0   // 000000006B58: D3D70094 0A031100
	v_mfma_i32_16x16x32_i8 v[148:151], a[2:3], v[138:139], v[148:151]// 000000006B60: D3D70094 0E531502
	v_mfma_i32_16x16x32_i8 v[152:155], a[4:5], v[128:129], 0   // 000000006B68: D3D70098 0A030104
	buffer_load_dwordx4 a[36:39], v35, s[12:15], 0 offen       // 000000006B70: E05C1000 80832423
	v_mfma_i32_16x16x32_i8 v[152:155], a[6:7], v[130:131], v[152:155]// 000000006B78: D3D70098 0E630506
	v_mfma_i32_16x16x32_i8 v[156:159], a[4:5], v[136:137], 0   // 000000006B80: D3D7009C 0A031104
	v_mfma_i32_16x16x32_i8 v[156:159], a[6:7], v[138:139], v[156:159]// 000000006B88: D3D7009C 0E731506
	v_mfma_i32_16x16x32_i8 v[160:163], a[8:9], v[128:129], 0   // 000000006B90: D3D700A0 0A030108
	buffer_load_dwordx4 a[40:43], v36, s[12:15], 0 offen       // 000000006B98: E05C1000 80832824
	v_mfma_i32_16x16x32_i8 v[160:163], a[10:11], v[130:131], v[160:163]// 000000006BA0: D3D700A0 0E83050A
	v_mfma_i32_16x16x32_i8 v[164:167], a[8:9], v[136:137], 0   // 000000006BA8: D3D700A4 0A031108
	v_mfma_i32_16x16x32_i8 v[164:167], a[10:11], v[138:139], v[164:167]// 000000006BB0: D3D700A4 0E93150A
	v_mfma_i32_16x16x32_i8 v[168:171], a[12:13], v[128:129], 0 // 000000006BB8: D3D700A8 0A03010C
	buffer_load_dwordx4 a[44:47], v37, s[12:15], 0 offen       // 000000006BC0: E05C1000 80832C25
	s_add_u32 s12, s78, s12                                    // 000000006BC8: 800C0C4E
	s_addc_u32 s13, 0, s13                                     // 000000006BCC: 820D0D80
	v_mfma_i32_16x16x32_i8 v[168:171], a[14:15], v[130:131], v[168:171]// 000000006BD0: D3D700A8 0EA3050E
	v_mfma_i32_16x16x32_i8 v[172:175], a[12:13], v[136:137], 0 // 000000006BD8: D3D700AC 0A03110C
	v_mfma_i32_16x16x32_i8 v[172:175], a[14:15], v[138:139], v[172:175]// 000000006BE0: D3D700AC 0EB3150E
	s_waitcnt vmcnt(20)                                        // 000000006BE8: BF8C4F74
	v_mfma_i32_16x16x32_i8 v[144:147], a[16:17], v[132:133], v[144:147]// 000000006BEC: D3D70090 0E430910
	buffer_load_dwordx4 a[48:51], v34, s[12:15], 0 offen       // 000000006BF4: E05C1000 80833022
	v_mfma_i32_16x16x32_i8 v[144:147], a[18:19], v[134:135], v[144:147]// 000000006BFC: D3D70090 0E430D12
	v_mfma_i32_16x16x32_i8 v[148:151], a[16:17], v[140:141], v[148:151]// 000000006C04: D3D70094 0E531910
	buffer_load_dword v12, v5, s[16:19], 0 offen               // 000000006C0C: E0501000 80040C05
	v_mfma_i32_16x16x32_i8 v[148:151], a[18:19], v[142:143], v[148:151]// 000000006C14: D3D70094 0E531D12
	v_mfma_i32_16x16x32_i8 v[152:155], a[20:21], v[132:133], v[152:155]// 000000006C1C: D3D70098 0E630914
	buffer_load_dwordx4 a[52:55], v35, s[12:15], 0 offen       // 000000006C24: E05C1000 80833423
	v_mfma_i32_16x16x32_i8 v[152:155], a[22:23], v[134:135], v[152:155]// 000000006C2C: D3D70098 0E630D16
	v_mfma_i32_16x16x32_i8 v[156:159], a[20:21], v[140:141], v[156:159]// 000000006C34: D3D7009C 0E731914
	v_mfma_i32_16x16x32_i8 v[156:159], a[22:23], v[142:143], v[156:159]// 000000006C3C: D3D7009C 0E731D16
	v_mfma_i32_16x16x32_i8 v[160:163], a[24:25], v[132:133], v[160:163]// 000000006C44: D3D700A0 0E830918
	buffer_load_dwordx4 a[56:59], v36, s[12:15], 0 offen       // 000000006C4C: E05C1000 80833824
	v_mfma_i32_16x16x32_i8 v[160:163], a[26:27], v[134:135], v[160:163]// 000000006C54: D3D700A0 0E830D1A
	v_mfma_i32_16x16x32_i8 v[164:167], a[24:25], v[140:141], v[164:167]// 000000006C5C: D3D700A4 0E931918
	v_mfma_i32_16x16x32_i8 v[164:167], a[26:27], v[142:143], v[164:167]// 000000006C64: D3D700A4 0E931D1A
	v_mfma_i32_16x16x32_i8 v[168:171], a[28:29], v[132:133], v[168:171]// 000000006C6C: D3D700A8 0EA3091C
	buffer_load_dwordx4 a[60:63], v37, s[12:15], 0 offen       // 000000006C74: E05C1000 80833C25
	v_mfma_i32_16x16x32_i8 v[168:171], a[30:31], v[134:135], v[168:171]// 000000006C7C: D3D700A8 0EA30D1E
	v_mfma_i32_16x16x32_i8 v[172:175], a[28:29], v[140:141], v[172:175]// 000000006C84: D3D700AC 0EB3191C
	v_mfma_i32_16x16x32_i8 v[172:175], a[30:31], v[142:143], v[172:175]// 000000006C8C: D3D700AC 0EB31D1E
	s_add_u32 s60, 0x200, s80                                  // 000000006C94: 803C50FF 00000200
	s_cmp_lt_u32 s60, s81                                      // 000000006C9C: BF0A513C
	s_cselect_b32 s56, s56, 0                                  // 000000006CA0: 85388038
	s_cselect_b32 s78, s78, 0                                  // 000000006CA4: 854E804E
	s_cselect_b32 s79, s79, 0                                  // 000000006CA8: 854F804F
	s_add_u32 s12, s56, s12                                    // 000000006CAC: 800C0C38
	s_addc_u32 s13, 0, s13                                     // 000000006CB0: 820D0D80
	s_add_u32 s16, s79, s16                                    // 000000006CB4: 8010104F
	s_addc_u32 s17, 0, s17                                     // 000000006CB8: 82111180
	v_cvt_f32_i32_e32 v144, v144                               // 000000006CBC: 7F200B90
	v_cvt_f32_i32_e32 v145, v145                               // 000000006CC0: 7F220B91
	v_cvt_f32_i32_e32 v146, v146                               // 000000006CC4: 7F240B92
	v_cvt_f32_i32_e32 v147, v147                               // 000000006CC8: 7F260B93
	v_mul_f32_e32 v144, v22, v144                              // 000000006CCC: 0B212116
	v_mul_f32_e32 v145, v22, v145                              // 000000006CD0: 0B232316
	v_mul_f32_e32 v146, v22, v146                              // 000000006CD4: 0B252516
	v_mul_f32_e32 v147, v22, v147                              // 000000006CD8: 0B272716
	v_mul_f32_dpp v144, v11, v144 row_newbcast:0 row_mask:0xf bank_mask:0xf// 000000006CDC: 0B2120FA FF01500B
	v_mul_f32_dpp v145, v11, v145 row_newbcast:1 row_mask:0xf bank_mask:0xf// 000000006CE4: 0B2322FA FF01510B
	v_mul_f32_dpp v146, v11, v146 row_newbcast:2 row_mask:0xf bank_mask:0xf// 000000006CEC: 0B2524FA FF01520B
	v_mul_f32_dpp v147, v11, v147 row_newbcast:3 row_mask:0xf bank_mask:0xf// 000000006CF4: 0B2726FA FF01530B
	v_mul_f32_e32 v144, v17, v144                              // 000000006CFC: 0B212111
	v_mul_f32_e32 v145, v17, v145                              // 000000006D00: 0B232311
	v_mul_f32_e32 v146, v17, v146                              // 000000006D04: 0B252511
	v_mul_f32_e32 v147, v17, v147                              // 000000006D08: 0B272711
	v_cvt_f32_i32_e32 v148, v148                               // 000000006D0C: 7F280B94
	v_cvt_f32_i32_e32 v149, v149                               // 000000006D10: 7F2A0B95
	v_cvt_f32_i32_e32 v150, v150                               // 000000006D14: 7F2C0B96
	v_cvt_f32_i32_e32 v151, v151                               // 000000006D18: 7F2E0B97
	v_mul_f32_e32 v148, v23, v148                              // 000000006D1C: 0B292917
	v_mul_f32_e32 v149, v23, v149                              // 000000006D20: 0B2B2B17
	v_mul_f32_e32 v150, v23, v150                              // 000000006D24: 0B2D2D17
	v_mul_f32_e32 v151, v23, v151                              // 000000006D28: 0B2F2F17
	v_mul_f32_dpp v148, v11, v148 row_newbcast:0 row_mask:0xf bank_mask:0xf// 000000006D2C: 0B2928FA FF01500B
	v_mul_f32_dpp v149, v11, v149 row_newbcast:1 row_mask:0xf bank_mask:0xf// 000000006D34: 0B2B2AFA FF01510B
	v_mul_f32_dpp v150, v11, v150 row_newbcast:2 row_mask:0xf bank_mask:0xf// 000000006D3C: 0B2D2CFA FF01520B
	v_mul_f32_dpp v151, v11, v151 row_newbcast:3 row_mask:0xf bank_mask:0xf// 000000006D44: 0B2F2EFA FF01530B
	v_mul_f32_e32 v148, v18, v148                              // 000000006D4C: 0B292912
	v_mul_f32_e32 v149, v18, v149                              // 000000006D50: 0B2B2B12
	v_mul_f32_e32 v150, v18, v150                              // 000000006D54: 0B2D2D12
	v_mul_f32_e32 v151, v18, v151                              // 000000006D58: 0B2F2F12
	v_cvt_f32_i32_e32 v152, v152                               // 000000006D5C: 7F300B98
	v_cvt_f32_i32_e32 v153, v153                               // 000000006D60: 7F320B99
	v_cvt_f32_i32_e32 v154, v154                               // 000000006D64: 7F340B9A
	v_cvt_f32_i32_e32 v155, v155                               // 000000006D68: 7F360B9B
	v_mul_f32_e32 v152, v22, v152                              // 000000006D6C: 0B313116
	v_mul_f32_e32 v153, v22, v153                              // 000000006D70: 0B333316
	v_mul_f32_e32 v154, v22, v154                              // 000000006D74: 0B353516
	v_mul_f32_e32 v155, v22, v155                              // 000000006D78: 0B373716
	v_mul_f32_dpp v152, v11, v152 row_newbcast:4 row_mask:0xf bank_mask:0xf// 000000006D7C: 0B3130FA FF01540B
	v_mul_f32_dpp v153, v11, v153 row_newbcast:5 row_mask:0xf bank_mask:0xf// 000000006D84: 0B3332FA FF01550B
	v_mul_f32_dpp v154, v11, v154 row_newbcast:6 row_mask:0xf bank_mask:0xf// 000000006D8C: 0B3534FA FF01560B
	v_mul_f32_dpp v155, v11, v155 row_newbcast:7 row_mask:0xf bank_mask:0xf// 000000006D94: 0B3736FA FF01570B
	v_mul_f32_e32 v152, v17, v152                              // 000000006D9C: 0B313111
	v_mul_f32_e32 v153, v17, v153                              // 000000006DA0: 0B333311
	v_mul_f32_e32 v154, v17, v154                              // 000000006DA4: 0B353511
	v_mul_f32_e32 v155, v17, v155                              // 000000006DA8: 0B373711
	v_cvt_f32_i32_e32 v156, v156                               // 000000006DAC: 7F380B9C
	v_cvt_f32_i32_e32 v157, v157                               // 000000006DB0: 7F3A0B9D
	v_cvt_f32_i32_e32 v158, v158                               // 000000006DB4: 7F3C0B9E
	v_cvt_f32_i32_e32 v159, v159                               // 000000006DB8: 7F3E0B9F
	v_mul_f32_e32 v156, v23, v156                              // 000000006DBC: 0B393917
	v_mul_f32_e32 v157, v23, v157                              // 000000006DC0: 0B3B3B17
	v_mul_f32_e32 v158, v23, v158                              // 000000006DC4: 0B3D3D17
	v_mul_f32_e32 v159, v23, v159                              // 000000006DC8: 0B3F3F17
	v_mul_f32_dpp v156, v11, v156 row_newbcast:4 row_mask:0xf bank_mask:0xf// 000000006DCC: 0B3938FA FF01540B
	v_mul_f32_dpp v157, v11, v157 row_newbcast:5 row_mask:0xf bank_mask:0xf// 000000006DD4: 0B3B3AFA FF01550B
	v_mul_f32_dpp v158, v11, v158 row_newbcast:6 row_mask:0xf bank_mask:0xf// 000000006DDC: 0B3D3CFA FF01560B
	v_mul_f32_dpp v159, v11, v159 row_newbcast:7 row_mask:0xf bank_mask:0xf// 000000006DE4: 0B3F3EFA FF01570B
	v_mul_f32_e32 v156, v18, v156                              // 000000006DEC: 0B393912
	v_mul_f32_e32 v157, v18, v157                              // 000000006DF0: 0B3B3B12
	v_mul_f32_e32 v158, v18, v158                              // 000000006DF4: 0B3D3D12
	v_mul_f32_e32 v159, v18, v159                              // 000000006DF8: 0B3F3F12
	v_cvt_f32_i32_e32 v160, v160                               // 000000006DFC: 7F400BA0
	v_cvt_f32_i32_e32 v161, v161                               // 000000006E00: 7F420BA1
	v_cvt_f32_i32_e32 v162, v162                               // 000000006E04: 7F440BA2
	v_cvt_f32_i32_e32 v163, v163                               // 000000006E08: 7F460BA3
	v_mul_f32_e32 v160, v22, v160                              // 000000006E0C: 0B414116
	v_mul_f32_e32 v161, v22, v161                              // 000000006E10: 0B434316
	v_mul_f32_e32 v162, v22, v162                              // 000000006E14: 0B454516
	v_mul_f32_e32 v163, v22, v163                              // 000000006E18: 0B474716
	v_mul_f32_dpp v160, v11, v160 row_newbcast:8 row_mask:0xf bank_mask:0xf// 000000006E1C: 0B4140FA FF01580B
	v_mul_f32_dpp v161, v11, v161 row_newbcast:9 row_mask:0xf bank_mask:0xf// 000000006E24: 0B4342FA FF01590B
	v_mul_f32_dpp v162, v11, v162 row_newbcast:10 row_mask:0xf bank_mask:0xf// 000000006E2C: 0B4544FA FF015A0B
	v_mul_f32_dpp v163, v11, v163 row_newbcast:11 row_mask:0xf bank_mask:0xf// 000000006E34: 0B4746FA FF015B0B
	v_mul_f32_e32 v160, v17, v160                              // 000000006E3C: 0B414111
	v_mul_f32_e32 v161, v17, v161                              // 000000006E40: 0B434311
	v_mul_f32_e32 v162, v17, v162                              // 000000006E44: 0B454511
	v_mul_f32_e32 v163, v17, v163                              // 000000006E48: 0B474711
	v_cvt_f32_i32_e32 v164, v164                               // 000000006E4C: 7F480BA4
	v_cvt_f32_i32_e32 v165, v165                               // 000000006E50: 7F4A0BA5
	v_cvt_f32_i32_e32 v166, v166                               // 000000006E54: 7F4C0BA6
	v_cvt_f32_i32_e32 v167, v167                               // 000000006E58: 7F4E0BA7
	v_mul_f32_e32 v164, v23, v164                              // 000000006E5C: 0B494917
	v_mul_f32_e32 v165, v23, v165                              // 000000006E60: 0B4B4B17
	v_mul_f32_e32 v166, v23, v166                              // 000000006E64: 0B4D4D17
	v_mul_f32_e32 v167, v23, v167                              // 000000006E68: 0B4F4F17
	v_mul_f32_dpp v164, v11, v164 row_newbcast:8 row_mask:0xf bank_mask:0xf// 000000006E6C: 0B4948FA FF01580B
	v_mul_f32_dpp v165, v11, v165 row_newbcast:9 row_mask:0xf bank_mask:0xf// 000000006E74: 0B4B4AFA FF01590B
	v_mul_f32_dpp v166, v11, v166 row_newbcast:10 row_mask:0xf bank_mask:0xf// 000000006E7C: 0B4D4CFA FF015A0B
	v_mul_f32_dpp v167, v11, v167 row_newbcast:11 row_mask:0xf bank_mask:0xf// 000000006E84: 0B4F4EFA FF015B0B
	v_mul_f32_e32 v164, v18, v164                              // 000000006E8C: 0B494912
	v_mul_f32_e32 v165, v18, v165                              // 000000006E90: 0B4B4B12
	v_mul_f32_e32 v166, v18, v166                              // 000000006E94: 0B4D4D12
	v_mul_f32_e32 v167, v18, v167                              // 000000006E98: 0B4F4F12
	v_cvt_f32_i32_e32 v168, v168                               // 000000006E9C: 7F500BA8
	v_cvt_f32_i32_e32 v169, v169                               // 000000006EA0: 7F520BA9
	v_cvt_f32_i32_e32 v170, v170                               // 000000006EA4: 7F540BAA
	v_cvt_f32_i32_e32 v171, v171                               // 000000006EA8: 7F560BAB
	v_mul_f32_e32 v168, v22, v168                              // 000000006EAC: 0B515116
	v_mul_f32_e32 v169, v22, v169                              // 000000006EB0: 0B535316
	v_mul_f32_e32 v170, v22, v170                              // 000000006EB4: 0B555516
	v_mul_f32_e32 v171, v22, v171                              // 000000006EB8: 0B575716
	v_mul_f32_dpp v168, v11, v168 row_newbcast:12 row_mask:0xf bank_mask:0xf// 000000006EBC: 0B5150FA FF015C0B
	v_mul_f32_dpp v169, v11, v169 row_newbcast:13 row_mask:0xf bank_mask:0xf// 000000006EC4: 0B5352FA FF015D0B
	v_mul_f32_dpp v170, v11, v170 row_newbcast:14 row_mask:0xf bank_mask:0xf// 000000006ECC: 0B5554FA FF015E0B
	v_mul_f32_dpp v171, v11, v171 row_newbcast:15 row_mask:0xf bank_mask:0xf// 000000006ED4: 0B5756FA FF015F0B
	v_mul_f32_e32 v168, v17, v168                              // 000000006EDC: 0B515111
	v_mul_f32_e32 v169, v17, v169                              // 000000006EE0: 0B535311
	v_mul_f32_e32 v170, v17, v170                              // 000000006EE4: 0B555511
	v_mul_f32_e32 v171, v17, v171                              // 000000006EE8: 0B575711
	v_cvt_f32_i32_e32 v172, v172                               // 000000006EEC: 7F580BAC
	v_cvt_f32_i32_e32 v173, v173                               // 000000006EF0: 7F5A0BAD
	v_cvt_f32_i32_e32 v174, v174                               // 000000006EF4: 7F5C0BAE
	v_cvt_f32_i32_e32 v175, v175                               // 000000006EF8: 7F5E0BAF
	v_mul_f32_e32 v172, v23, v172                              // 000000006EFC: 0B595917
	v_mul_f32_e32 v173, v23, v173                              // 000000006F00: 0B5B5B17
	v_mul_f32_e32 v174, v23, v174                              // 000000006F04: 0B5D5D17
	v_mul_f32_e32 v175, v23, v175                              // 000000006F08: 0B5F5F17
	v_mul_f32_dpp v172, v11, v172 row_newbcast:12 row_mask:0xf bank_mask:0xf// 000000006F0C: 0B5958FA FF015C0B
	v_mul_f32_dpp v173, v11, v173 row_newbcast:13 row_mask:0xf bank_mask:0xf// 000000006F14: 0B5B5AFA FF015D0B
	v_mul_f32_dpp v174, v11, v174 row_newbcast:14 row_mask:0xf bank_mask:0xf// 000000006F1C: 0B5D5CFA FF015E0B
	v_mul_f32_dpp v175, v11, v175 row_newbcast:15 row_mask:0xf bank_mask:0xf// 000000006F24: 0B5F5EFA FF015F0B
	v_mul_f32_e32 v172, v18, v172                              // 000000006F2C: 0B595912
	v_mul_f32_e32 v173, v18, v173                              // 000000006F30: 0B5B5B12
	v_mul_f32_e32 v174, v18, v174                              // 000000006F34: 0B5D5D12
	v_mul_f32_e32 v175, v18, v175                              // 000000006F38: 0B5F5F12
	v_cmp_u_f32_e64 s[48:49], v144, v144                       // 000000006F3C: D0480030 00032190
	v_add3_u32 v38, v144, v41, 1                               // 000000006F44: D1FF0026 02065390
	v_cndmask_b32_e64 v44, v38, v40, s[48:49]                  // 000000006F4C: D100002C 00C25126
	v_cmp_u_f32_e64 s[48:49], v145, v145                       // 000000006F54: D0480030 00032391
	v_add3_u32 v38, v145, v41, 1                               // 000000006F5C: D1FF0026 02065391
	v_cndmask_b32_e64 v45, v38, v40, s[48:49]                  // 000000006F64: D100002D 00C25126
	v_perm_b32 v144, v45, v44, s52                             // 000000006F6C: D1ED0090 00D2592D
	v_cmp_u_f32_e64 s[48:49], v146, v146                       // 000000006F74: D0480030 00032592
	v_add3_u32 v38, v146, v41, 1                               // 000000006F7C: D1FF0026 02065392
	v_cndmask_b32_e64 v44, v38, v40, s[48:49]                  // 000000006F84: D100002C 00C25126
	v_cmp_u_f32_e64 s[48:49], v147, v147                       // 000000006F8C: D0480030 00032793
	v_add3_u32 v38, v147, v41, 1                               // 000000006F94: D1FF0026 02065393
	v_cndmask_b32_e64 v45, v38, v40, s[48:49]                  // 000000006F9C: D100002D 00C25126
	v_perm_b32 v145, v45, v44, s52                             // 000000006FA4: D1ED0091 00D2592D
	v_cmp_u_f32_e64 s[48:49], v148, v148                       // 000000006FAC: D0480030 00032994
	v_add3_u32 v38, v148, v41, 1                               // 000000006FB4: D1FF0026 02065394
	v_cndmask_b32_e64 v44, v38, v40, s[48:49]                  // 000000006FBC: D100002C 00C25126
	v_cmp_u_f32_e64 s[48:49], v149, v149                       // 000000006FC4: D0480030 00032B95
	v_add3_u32 v38, v149, v41, 1                               // 000000006FCC: D1FF0026 02065395
	v_cndmask_b32_e64 v45, v38, v40, s[48:49]                  // 000000006FD4: D100002D 00C25126
	v_perm_b32 v146, v45, v44, s52                             // 000000006FDC: D1ED0092 00D2592D
	v_cmp_u_f32_e64 s[48:49], v150, v150                       // 000000006FE4: D0480030 00032D96
	v_add3_u32 v38, v150, v41, 1                               // 000000006FEC: D1FF0026 02065396
	v_cndmask_b32_e64 v44, v38, v40, s[48:49]                  // 000000006FF4: D100002C 00C25126
	v_cmp_u_f32_e64 s[48:49], v151, v151                       // 000000006FFC: D0480030 00032F97
	v_add3_u32 v38, v151, v41, 1                               // 000000007004: D1FF0026 02065397
	v_cndmask_b32_e64 v45, v38, v40, s[48:49]                  // 00000000700C: D100002D 00C25126
	v_perm_b32 v147, v45, v44, s52                             // 000000007014: D1ED0093 00D2592D
	v_cmp_u_f32_e64 s[48:49], v152, v152                       // 00000000701C: D0480030 00033198
	v_add3_u32 v38, v152, v41, 1                               // 000000007024: D1FF0026 02065398
	v_cndmask_b32_e64 v44, v38, v40, s[48:49]                  // 00000000702C: D100002C 00C25126
	v_cmp_u_f32_e64 s[48:49], v153, v153                       // 000000007034: D0480030 00033399
	v_add3_u32 v38, v153, v41, 1                               // 00000000703C: D1FF0026 02065399
	v_cndmask_b32_e64 v45, v38, v40, s[48:49]                  // 000000007044: D100002D 00C25126
	v_perm_b32 v148, v45, v44, s52                             // 00000000704C: D1ED0094 00D2592D
	v_cmp_u_f32_e64 s[48:49], v154, v154                       // 000000007054: D0480030 0003359A
	v_add3_u32 v38, v154, v41, 1                               // 00000000705C: D1FF0026 0206539A
	v_cndmask_b32_e64 v44, v38, v40, s[48:49]                  // 000000007064: D100002C 00C25126
	v_cmp_u_f32_e64 s[48:49], v155, v155                       // 00000000706C: D0480030 0003379B
	v_add3_u32 v38, v155, v41, 1                               // 000000007074: D1FF0026 0206539B
	v_cndmask_b32_e64 v45, v38, v40, s[48:49]                  // 00000000707C: D100002D 00C25126
	v_perm_b32 v149, v45, v44, s52                             // 000000007084: D1ED0095 00D2592D
	v_cmp_u_f32_e64 s[48:49], v156, v156                       // 00000000708C: D0480030 0003399C
	v_add3_u32 v38, v156, v41, 1                               // 000000007094: D1FF0026 0206539C
	v_cndmask_b32_e64 v44, v38, v40, s[48:49]                  // 00000000709C: D100002C 00C25126
	v_cmp_u_f32_e64 s[48:49], v157, v157                       // 0000000070A4: D0480030 00033B9D
	v_add3_u32 v38, v157, v41, 1                               // 0000000070AC: D1FF0026 0206539D
	v_cndmask_b32_e64 v45, v38, v40, s[48:49]                  // 0000000070B4: D100002D 00C25126
	v_perm_b32 v150, v45, v44, s52                             // 0000000070BC: D1ED0096 00D2592D
	v_cmp_u_f32_e64 s[48:49], v158, v158                       // 0000000070C4: D0480030 00033D9E
	v_add3_u32 v38, v158, v41, 1                               // 0000000070CC: D1FF0026 0206539E
	v_cndmask_b32_e64 v44, v38, v40, s[48:49]                  // 0000000070D4: D100002C 00C25126
	v_cmp_u_f32_e64 s[48:49], v159, v159                       // 0000000070DC: D0480030 00033F9F
	v_add3_u32 v38, v159, v41, 1                               // 0000000070E4: D1FF0026 0206539F
	v_cndmask_b32_e64 v45, v38, v40, s[48:49]                  // 0000000070EC: D100002D 00C25126
	v_perm_b32 v151, v45, v44, s52                             // 0000000070F4: D1ED0097 00D2592D
	v_cmp_u_f32_e64 s[48:49], v160, v160                       // 0000000070FC: D0480030 000341A0
	v_add3_u32 v38, v160, v41, 1                               // 000000007104: D1FF0026 020653A0
	v_cndmask_b32_e64 v44, v38, v40, s[48:49]                  // 00000000710C: D100002C 00C25126
	v_cmp_u_f32_e64 s[48:49], v161, v161                       // 000000007114: D0480030 000343A1
	v_add3_u32 v38, v161, v41, 1                               // 00000000711C: D1FF0026 020653A1
	v_cndmask_b32_e64 v45, v38, v40, s[48:49]                  // 000000007124: D100002D 00C25126
	v_perm_b32 v152, v45, v44, s52                             // 00000000712C: D1ED0098 00D2592D
	v_cmp_u_f32_e64 s[48:49], v162, v162                       // 000000007134: D0480030 000345A2
	v_add3_u32 v38, v162, v41, 1                               // 00000000713C: D1FF0026 020653A2
	v_cndmask_b32_e64 v44, v38, v40, s[48:49]                  // 000000007144: D100002C 00C25126
	v_cmp_u_f32_e64 s[48:49], v163, v163                       // 00000000714C: D0480030 000347A3
	v_add3_u32 v38, v163, v41, 1                               // 000000007154: D1FF0026 020653A3
	v_cndmask_b32_e64 v45, v38, v40, s[48:49]                  // 00000000715C: D100002D 00C25126
	v_perm_b32 v153, v45, v44, s52                             // 000000007164: D1ED0099 00D2592D
	v_cmp_u_f32_e64 s[48:49], v164, v164                       // 00000000716C: D0480030 000349A4
	v_add3_u32 v38, v164, v41, 1                               // 000000007174: D1FF0026 020653A4
	v_cndmask_b32_e64 v44, v38, v40, s[48:49]                  // 00000000717C: D100002C 00C25126
	v_cmp_u_f32_e64 s[48:49], v165, v165                       // 000000007184: D0480030 00034BA5
	v_add3_u32 v38, v165, v41, 1                               // 00000000718C: D1FF0026 020653A5
	v_cndmask_b32_e64 v45, v38, v40, s[48:49]                  // 000000007194: D100002D 00C25126
	v_perm_b32 v154, v45, v44, s52                             // 00000000719C: D1ED009A 00D2592D
	v_cmp_u_f32_e64 s[48:49], v166, v166                       // 0000000071A4: D0480030 00034DA6
	v_add3_u32 v38, v166, v41, 1                               // 0000000071AC: D1FF0026 020653A6
	v_cndmask_b32_e64 v44, v38, v40, s[48:49]                  // 0000000071B4: D100002C 00C25126
	v_cmp_u_f32_e64 s[48:49], v167, v167                       // 0000000071BC: D0480030 00034FA7
	v_add3_u32 v38, v167, v41, 1                               // 0000000071C4: D1FF0026 020653A7
	v_cndmask_b32_e64 v45, v38, v40, s[48:49]                  // 0000000071CC: D100002D 00C25126
	v_perm_b32 v155, v45, v44, s52                             // 0000000071D4: D1ED009B 00D2592D
	v_cmp_u_f32_e64 s[48:49], v168, v168                       // 0000000071DC: D0480030 000351A8
	v_add3_u32 v38, v168, v41, 1                               // 0000000071E4: D1FF0026 020653A8
	v_cndmask_b32_e64 v44, v38, v40, s[48:49]                  // 0000000071EC: D100002C 00C25126
	v_cmp_u_f32_e64 s[48:49], v169, v169                       // 0000000071F4: D0480030 000353A9
	v_add3_u32 v38, v169, v41, 1                               // 0000000071FC: D1FF0026 020653A9
	v_cndmask_b32_e64 v45, v38, v40, s[48:49]                  // 000000007204: D100002D 00C25126
	v_perm_b32 v156, v45, v44, s52                             // 00000000720C: D1ED009C 00D2592D
	v_cmp_u_f32_e64 s[48:49], v170, v170                       // 000000007214: D0480030 000355AA
	v_add3_u32 v38, v170, v41, 1                               // 00000000721C: D1FF0026 020653AA
	v_cndmask_b32_e64 v44, v38, v40, s[48:49]                  // 000000007224: D100002C 00C25126
	v_cmp_u_f32_e64 s[48:49], v171, v171                       // 00000000722C: D0480030 000357AB
	v_add3_u32 v38, v171, v41, 1                               // 000000007234: D1FF0026 020653AB
	v_cndmask_b32_e64 v45, v38, v40, s[48:49]                  // 00000000723C: D100002D 00C25126
	v_perm_b32 v157, v45, v44, s52                             // 000000007244: D1ED009D 00D2592D
	v_cmp_u_f32_e64 s[48:49], v172, v172                       // 00000000724C: D0480030 000359AC
	v_add3_u32 v38, v172, v41, 1                               // 000000007254: D1FF0026 020653AC
	v_cndmask_b32_e64 v44, v38, v40, s[48:49]                  // 00000000725C: D100002C 00C25126
	v_cmp_u_f32_e64 s[48:49], v173, v173                       // 000000007264: D0480030 00035BAD
	v_add3_u32 v38, v173, v41, 1                               // 00000000726C: D1FF0026 020653AD
	v_cndmask_b32_e64 v45, v38, v40, s[48:49]                  // 000000007274: D100002D 00C25126
	v_perm_b32 v158, v45, v44, s52                             // 00000000727C: D1ED009E 00D2592D
	v_cmp_u_f32_e64 s[48:49], v174, v174                       // 000000007284: D0480030 00035DAE
	v_add3_u32 v38, v174, v41, 1                               // 00000000728C: D1FF0026 020653AE
	v_cndmask_b32_e64 v44, v38, v40, s[48:49]                  // 000000007294: D100002C 00C25126
	v_cmp_u_f32_e64 s[48:49], v175, v175                       // 00000000729C: D0480030 00035FAF
	v_add3_u32 v38, v175, v41, 1                               // 0000000072A4: D1FF0026 020653AF
	v_cndmask_b32_e64 v45, v38, v40, s[48:49]                  // 0000000072AC: D100002D 00C25126
	v_perm_b32 v159, v45, v44, s52                             // 0000000072B4: D1ED009F 00D2592D
	ds_write_b64 v3, v[144:145] offset:22784                   // 0000000072BC: D89A5900 00009003
	ds_write_b64 v3, v[146:147] offset:31488                   // 0000000072C4: D89A7B00 00009203
	ds_write_b64 v3, v[148:149] offset:24960                   // 0000000072CC: D89A6180 00009403
	ds_write_b64 v3, v[150:151] offset:33664                   // 0000000072D4: D89A8380 00009603
	ds_write_b64 v3, v[152:153] offset:27136                   // 0000000072DC: D89A6A00 00009803
	ds_write_b64 v3, v[154:155] offset:35840                   // 0000000072E4: D89A8C00 00009A03
	ds_write_b64 v3, v[156:157] offset:29312                   // 0000000072EC: D89A7280 00009C03
	ds_write_b64 v3, v[158:159] offset:38016                   // 0000000072F4: D89A9480 00009E03
	s_waitcnt lgkmcnt(0)                                       // 0000000072FC: BF8CC07F
	s_barrier                                                  // 000000007300: BF8A0000
	ds_read_b32 v64, v4 offset:22784                           // 000000007304: D86C5900 40000004
	ds_read_b32 v65, v4 offset:27136                           // 00000000730C: D86C6A00 41000004
	ds_read_b32 v66, v4 offset:22816                           // 000000007314: D86C5920 42000004
	ds_read_b32 v67, v4 offset:27168                           // 00000000731C: D86C6A20 43000004
	ds_read_b32 v68, v4 offset:22848                           // 000000007324: D86C5940 44000004
	ds_read_b32 v69, v4 offset:27200                           // 00000000732C: D86C6A40 45000004
	ds_read_b32 v70, v4 offset:22880                           // 000000007334: D86C5960 46000004
	ds_read_b32 v71, v4 offset:27232                           // 00000000733C: D86C6A60 47000004
	ds_read_b32 v72, v4 offset:31488                           // 000000007344: D86C7B00 48000004
	ds_read_b32 v73, v4 offset:35840                           // 00000000734C: D86C8C00 49000004
	ds_read_b32 v74, v4 offset:31520                           // 000000007354: D86C7B20 4A000004
	ds_read_b32 v75, v4 offset:35872                           // 00000000735C: D86C8C20 4B000004
	ds_read_b32 v76, v4 offset:31552                           // 000000007364: D86C7B40 4C000004
	ds_read_b32 v77, v4 offset:35904                           // 00000000736C: D86C8C40 4D000004
	ds_read_b32 v78, v4 offset:31584                           // 000000007374: D86C7B60 4E000004
	ds_read_b32 v79, v4 offset:35936                           // 00000000737C: D86C8C60 4F000004
	s_waitcnt lgkmcnt(0)                                       // 000000007384: BF8CC07F
	s_mov_b64 exec, s[20:21]                                   // 000000007388: BEFE0114
	global_atomic_pk_add_bf16 v80, v64, s[8:9]                 // 00000000738C: DD488000 00084050
	s_mov_b64 exec, s[36:37]                                   // 000000007394: BEFE0124
	s_mov_b64 exec, s[20:21]                                   // 000000007398: BEFE0114
	global_atomic_pk_add_bf16 v80, v65, s[8:9] offset:256      // 00000000739C: DD488100 00084150
	s_mov_b64 exec, s[36:37]                                   // 0000000073A4: BEFE0124
	s_mov_b64 exec, s[22:23]                                   // 0000000073A8: BEFE0116
	global_atomic_pk_add_bf16 v82, v66, s[8:9]                 // 0000000073AC: DD488000 00084252
	s_mov_b64 exec, s[36:37]                                   // 0000000073B4: BEFE0124
	s_mov_b64 exec, s[22:23]                                   // 0000000073B8: BEFE0116
	global_atomic_pk_add_bf16 v82, v67, s[8:9] offset:256      // 0000000073BC: DD488100 00084352
	s_mov_b64 exec, s[36:37]                                   // 0000000073C4: BEFE0124
	s_mov_b64 exec, s[24:25]                                   // 0000000073C8: BEFE0118
	global_atomic_pk_add_bf16 v84, v68, s[8:9]                 // 0000000073CC: DD488000 00084454
	s_mov_b64 exec, s[36:37]                                   // 0000000073D4: BEFE0124
	s_mov_b64 exec, s[24:25]                                   // 0000000073D8: BEFE0118
	global_atomic_pk_add_bf16 v84, v69, s[8:9] offset:256      // 0000000073DC: DD488100 00084554
	s_mov_b64 exec, s[36:37]                                   // 0000000073E4: BEFE0124
	s_mov_b64 exec, s[26:27]                                   // 0000000073E8: BEFE011A
	global_atomic_pk_add_bf16 v86, v70, s[8:9]                 // 0000000073EC: DD488000 00084656
	s_mov_b64 exec, s[36:37]                                   // 0000000073F4: BEFE0124
	s_mov_b64 exec, s[26:27]                                   // 0000000073F8: BEFE011A
	global_atomic_pk_add_bf16 v86, v71, s[8:9] offset:256      // 0000000073FC: DD488100 00084756
	s_mov_b64 exec, s[36:37]                                   // 000000007404: BEFE0124
	s_mov_b64 exec, s[28:29]                                   // 000000007408: BEFE011C
	global_atomic_pk_add_bf16 v88, v72, s[8:9]                 // 00000000740C: DD488000 00084858
	s_mov_b64 exec, s[36:37]                                   // 000000007414: BEFE0124
	s_mov_b64 exec, s[28:29]                                   // 000000007418: BEFE011C
	global_atomic_pk_add_bf16 v88, v73, s[8:9] offset:256      // 00000000741C: DD488100 00084958
	s_mov_b64 exec, s[36:37]                                   // 000000007424: BEFE0124
	s_mov_b64 exec, s[30:31]                                   // 000000007428: BEFE011E
	global_atomic_pk_add_bf16 v90, v74, s[8:9]                 // 00000000742C: DD488000 00084A5A
	s_mov_b64 exec, s[36:37]                                   // 000000007434: BEFE0124
	s_mov_b64 exec, s[30:31]                                   // 000000007438: BEFE011E
	global_atomic_pk_add_bf16 v90, v75, s[8:9] offset:256      // 00000000743C: DD488100 00084B5A
	s_mov_b64 exec, s[36:37]                                   // 000000007444: BEFE0124
	s_mov_b64 exec, s[32:33]                                   // 000000007448: BEFE0120
	global_atomic_pk_add_bf16 v92, v76, s[8:9]                 // 00000000744C: DD488000 00084C5C
	s_mov_b64 exec, s[36:37]                                   // 000000007454: BEFE0124
	s_mov_b64 exec, s[32:33]                                   // 000000007458: BEFE0120
	global_atomic_pk_add_bf16 v92, v77, s[8:9] offset:256      // 00000000745C: DD488100 00084D5C
	s_mov_b64 exec, s[36:37]                                   // 000000007464: BEFE0124
	s_mov_b64 exec, s[34:35]                                   // 000000007468: BEFE0122
	global_atomic_pk_add_bf16 v94, v78, s[8:9]                 // 00000000746C: DD488000 00084E5E
	s_mov_b64 exec, s[36:37]                                   // 000000007474: BEFE0124
	s_mov_b64 exec, s[34:35]                                   // 000000007478: BEFE0122
	global_atomic_pk_add_bf16 v94, v79, s[8:9] offset:256      // 00000000747C: DD488100 00084F5E
	s_mov_b64 exec, s[36:37]                                   // 000000007484: BEFE0124
	s_add_u32 s8, s59, s8                                      // 000000007488: 8008083B
	s_addc_u32 s9, 0, s9                                       // 00000000748C: 82090980
	s_addk_i32 s80, 0x100                                      // 000000007490: B7500100
	s_cmp_lt_i32 s80, s81                                      // 000000007494: BF045150
	s_cbranch_scc0 label_0B46                                  // 000000007498: BF84F99F
	s_waitcnt vmcnt(21)                                        // 00000000749C: BF8C4F75
	s_barrier                                                  // 0000000074A0: BF8A0000
	v_mfma_i32_16x16x32_i8 v[176:179], a[32:33], v[128:129], 0 // 0000000074A4: D3D700B0 0A030120
	buffer_load_dwordx4 a[0:3], v34, s[12:15], 0 offen         // 0000000074AC: E05C1000 80830022
	v_mfma_i32_16x16x32_i8 v[176:179], a[34:35], v[130:131], v[176:179]// 0000000074B4: D3D700B0 0EC30522
	v_mfma_i32_16x16x32_i8 v[180:183], a[32:33], v[136:137], 0 // 0000000074BC: D3D700B4 0A031120
	v_mfma_i32_16x16x32_i8 v[180:183], a[34:35], v[138:139], v[180:183]// 0000000074C4: D3D700B4 0ED31522
	v_mfma_i32_16x16x32_i8 v[184:187], a[36:37], v[128:129], 0 // 0000000074CC: D3D700B8 0A030124
	buffer_load_dwordx4 a[4:7], v35, s[12:15], 0 offen         // 0000000074D4: E05C1000 80830423
	v_mfma_i32_16x16x32_i8 v[184:187], a[38:39], v[130:131], v[184:187]// 0000000074DC: D3D700B8 0EE30526
	v_mfma_i32_16x16x32_i8 v[188:191], a[36:37], v[136:137], 0 // 0000000074E4: D3D700BC 0A031124
	v_mfma_i32_16x16x32_i8 v[188:191], a[38:39], v[138:139], v[188:191]// 0000000074EC: D3D700BC 0EF31526
	v_mfma_i32_16x16x32_i8 v[192:195], a[40:41], v[128:129], 0 // 0000000074F4: D3D700C0 0A030128
	buffer_load_dwordx4 a[8:11], v36, s[12:15], 0 offen        // 0000000074FC: E05C1000 80830824
	v_mfma_i32_16x16x32_i8 v[192:195], a[42:43], v[130:131], v[192:195]// 000000007504: D3D700C0 0F03052A
	v_mfma_i32_16x16x32_i8 v[196:199], a[40:41], v[136:137], 0 // 00000000750C: D3D700C4 0A031128
	v_mfma_i32_16x16x32_i8 v[196:199], a[42:43], v[138:139], v[196:199]// 000000007514: D3D700C4 0F13152A
	v_mfma_i32_16x16x32_i8 v[200:203], a[44:45], v[128:129], 0 // 00000000751C: D3D700C8 0A03012C
	buffer_load_dwordx4 a[12:15], v37, s[12:15], 0 offen       // 000000007524: E05C1000 80830C25
	s_add_u32 s12, s78, s12                                    // 00000000752C: 800C0C4E
	s_addc_u32 s13, 0, s13                                     // 000000007530: 820D0D80
	v_mfma_i32_16x16x32_i8 v[200:203], a[46:47], v[130:131], v[200:203]// 000000007534: D3D700C8 0F23052E
	v_mfma_i32_16x16x32_i8 v[204:207], a[44:45], v[136:137], 0 // 00000000753C: D3D700CC 0A03112C
	v_mfma_i32_16x16x32_i8 v[204:207], a[46:47], v[138:139], v[204:207]// 000000007544: D3D700CC 0F33152E
	s_waitcnt vmcnt(20)                                        // 00000000754C: BF8C4F74
	v_mfma_i32_16x16x32_i8 v[176:179], a[48:49], v[132:133], v[176:179]// 000000007550: D3D700B0 0EC30930
	buffer_load_dwordx4 a[16:19], v34, s[12:15], 0 offen       // 000000007558: E05C1000 80831022
	v_mfma_i32_16x16x32_i8 v[176:179], a[50:51], v[134:135], v[176:179]// 000000007560: D3D700B0 0EC30D32
	v_mfma_i32_16x16x32_i8 v[180:183], a[48:49], v[140:141], v[180:183]// 000000007568: D3D700B4 0ED31930
	buffer_load_dword v11, v5, s[16:19], 0 offen               // 000000007570: E0501000 80040B05
	v_mfma_i32_16x16x32_i8 v[180:183], a[50:51], v[142:143], v[180:183]// 000000007578: D3D700B4 0ED31D32
	v_mfma_i32_16x16x32_i8 v[184:187], a[52:53], v[132:133], v[184:187]// 000000007580: D3D700B8 0EE30934
	buffer_load_dwordx4 a[20:23], v35, s[12:15], 0 offen       // 000000007588: E05C1000 80831423
	v_mfma_i32_16x16x32_i8 v[184:187], a[54:55], v[134:135], v[184:187]// 000000007590: D3D700B8 0EE30D36
	v_mfma_i32_16x16x32_i8 v[188:191], a[52:53], v[140:141], v[188:191]// 000000007598: D3D700BC 0EF31934
	v_mfma_i32_16x16x32_i8 v[188:191], a[54:55], v[142:143], v[188:191]// 0000000075A0: D3D700BC 0EF31D36
	v_mfma_i32_16x16x32_i8 v[192:195], a[56:57], v[132:133], v[192:195]// 0000000075A8: D3D700C0 0F030938
	buffer_load_dwordx4 a[24:27], v36, s[12:15], 0 offen       // 0000000075B0: E05C1000 80831824
	v_mfma_i32_16x16x32_i8 v[192:195], a[58:59], v[134:135], v[192:195]// 0000000075B8: D3D700C0 0F030D3A
	v_mfma_i32_16x16x32_i8 v[196:199], a[56:57], v[140:141], v[196:199]// 0000000075C0: D3D700C4 0F131938
	v_mfma_i32_16x16x32_i8 v[196:199], a[58:59], v[142:143], v[196:199]// 0000000075C8: D3D700C4 0F131D3A
	v_mfma_i32_16x16x32_i8 v[200:203], a[60:61], v[132:133], v[200:203]// 0000000075D0: D3D700C8 0F23093C
	buffer_load_dwordx4 a[28:31], v37, s[12:15], 0 offen       // 0000000075D8: E05C1000 80831C25
	v_mfma_i32_16x16x32_i8 v[200:203], a[62:63], v[134:135], v[200:203]// 0000000075E0: D3D700C8 0F230D3E
	v_mfma_i32_16x16x32_i8 v[204:207], a[60:61], v[140:141], v[204:207]// 0000000075E8: D3D700CC 0F33193C
	v_mfma_i32_16x16x32_i8 v[204:207], a[62:63], v[142:143], v[204:207]// 0000000075F0: D3D700CC 0F331D3E
	s_add_u32 s60, 0x200, s80                                  // 0000000075F8: 803C50FF 00000200
	s_cmp_lt_u32 s60, s81                                      // 000000007600: BF0A513C
	s_cselect_b32 s56, s56, 0                                  // 000000007604: 85388038
	s_cselect_b32 s78, s78, 0                                  // 000000007608: 854E804E
	s_cselect_b32 s79, s79, 0                                  // 00000000760C: 854F804F
	s_add_u32 s12, s56, s12                                    // 000000007610: 800C0C38
	s_addc_u32 s13, 0, s13                                     // 000000007614: 820D0D80
	s_add_u32 s16, s79, s16                                    // 000000007618: 8010104F
	s_addc_u32 s17, 0, s17                                     // 00000000761C: 82111180
	v_cvt_f32_i32_e32 v176, v176                               // 000000007620: 7F600BB0
	v_cvt_f32_i32_e32 v177, v177                               // 000000007624: 7F620BB1
	v_cvt_f32_i32_e32 v178, v178                               // 000000007628: 7F640BB2
	v_cvt_f32_i32_e32 v179, v179                               // 00000000762C: 7F660BB3
	v_mul_f32_e32 v176, v22, v176                              // 000000007630: 0B616116
	v_mul_f32_e32 v177, v22, v177                              // 000000007634: 0B636316
	v_mul_f32_e32 v178, v22, v178                              // 000000007638: 0B656516
	v_mul_f32_e32 v179, v22, v179                              // 00000000763C: 0B676716
	v_mul_f32_dpp v176, v12, v176 row_newbcast:0 row_mask:0xf bank_mask:0xf// 000000007640: 0B6160FA FF01500C
	v_mul_f32_dpp v177, v12, v177 row_newbcast:1 row_mask:0xf bank_mask:0xf// 000000007648: 0B6362FA FF01510C
	v_mul_f32_dpp v178, v12, v178 row_newbcast:2 row_mask:0xf bank_mask:0xf// 000000007650: 0B6564FA FF01520C
	v_mul_f32_dpp v179, v12, v179 row_newbcast:3 row_mask:0xf bank_mask:0xf// 000000007658: 0B6766FA FF01530C
	v_mul_f32_e32 v176, v17, v176                              // 000000007660: 0B616111
	v_mul_f32_e32 v177, v17, v177                              // 000000007664: 0B636311
	v_mul_f32_e32 v178, v17, v178                              // 000000007668: 0B656511
	v_mul_f32_e32 v179, v17, v179                              // 00000000766C: 0B676711
	v_cvt_f32_i32_e32 v180, v180                               // 000000007670: 7F680BB4
	v_cvt_f32_i32_e32 v181, v181                               // 000000007674: 7F6A0BB5
	v_cvt_f32_i32_e32 v182, v182                               // 000000007678: 7F6C0BB6
	v_cvt_f32_i32_e32 v183, v183                               // 00000000767C: 7F6E0BB7
	v_mul_f32_e32 v180, v23, v180                              // 000000007680: 0B696917
	v_mul_f32_e32 v181, v23, v181                              // 000000007684: 0B6B6B17
	v_mul_f32_e32 v182, v23, v182                              // 000000007688: 0B6D6D17
	v_mul_f32_e32 v183, v23, v183                              // 00000000768C: 0B6F6F17
	v_mul_f32_dpp v180, v12, v180 row_newbcast:0 row_mask:0xf bank_mask:0xf// 000000007690: 0B6968FA FF01500C
	v_mul_f32_dpp v181, v12, v181 row_newbcast:1 row_mask:0xf bank_mask:0xf// 000000007698: 0B6B6AFA FF01510C
	v_mul_f32_dpp v182, v12, v182 row_newbcast:2 row_mask:0xf bank_mask:0xf// 0000000076A0: 0B6D6CFA FF01520C
	v_mul_f32_dpp v183, v12, v183 row_newbcast:3 row_mask:0xf bank_mask:0xf// 0000000076A8: 0B6F6EFA FF01530C
	v_mul_f32_e32 v180, v18, v180                              // 0000000076B0: 0B696912
	v_mul_f32_e32 v181, v18, v181                              // 0000000076B4: 0B6B6B12
	v_mul_f32_e32 v182, v18, v182                              // 0000000076B8: 0B6D6D12
	v_mul_f32_e32 v183, v18, v183                              // 0000000076BC: 0B6F6F12
	v_cvt_f32_i32_e32 v184, v184                               // 0000000076C0: 7F700BB8
	v_cvt_f32_i32_e32 v185, v185                               // 0000000076C4: 7F720BB9
	v_cvt_f32_i32_e32 v186, v186                               // 0000000076C8: 7F740BBA
	v_cvt_f32_i32_e32 v187, v187                               // 0000000076CC: 7F760BBB
	v_mul_f32_e32 v184, v22, v184                              // 0000000076D0: 0B717116
	v_mul_f32_e32 v185, v22, v185                              // 0000000076D4: 0B737316
	v_mul_f32_e32 v186, v22, v186                              // 0000000076D8: 0B757516
	v_mul_f32_e32 v187, v22, v187                              // 0000000076DC: 0B777716
	v_mul_f32_dpp v184, v12, v184 row_newbcast:4 row_mask:0xf bank_mask:0xf// 0000000076E0: 0B7170FA FF01540C
	v_mul_f32_dpp v185, v12, v185 row_newbcast:5 row_mask:0xf bank_mask:0xf// 0000000076E8: 0B7372FA FF01550C
	v_mul_f32_dpp v186, v12, v186 row_newbcast:6 row_mask:0xf bank_mask:0xf// 0000000076F0: 0B7574FA FF01560C
	v_mul_f32_dpp v187, v12, v187 row_newbcast:7 row_mask:0xf bank_mask:0xf// 0000000076F8: 0B7776FA FF01570C
	v_mul_f32_e32 v184, v17, v184                              // 000000007700: 0B717111
	v_mul_f32_e32 v185, v17, v185                              // 000000007704: 0B737311
	v_mul_f32_e32 v186, v17, v186                              // 000000007708: 0B757511
	v_mul_f32_e32 v187, v17, v187                              // 00000000770C: 0B777711
	v_cvt_f32_i32_e32 v188, v188                               // 000000007710: 7F780BBC
	v_cvt_f32_i32_e32 v189, v189                               // 000000007714: 7F7A0BBD
	v_cvt_f32_i32_e32 v190, v190                               // 000000007718: 7F7C0BBE
	v_cvt_f32_i32_e32 v191, v191                               // 00000000771C: 7F7E0BBF
	v_mul_f32_e32 v188, v23, v188                              // 000000007720: 0B797917
	v_mul_f32_e32 v189, v23, v189                              // 000000007724: 0B7B7B17
	v_mul_f32_e32 v190, v23, v190                              // 000000007728: 0B7D7D17
	v_mul_f32_e32 v191, v23, v191                              // 00000000772C: 0B7F7F17
	v_mul_f32_dpp v188, v12, v188 row_newbcast:4 row_mask:0xf bank_mask:0xf// 000000007730: 0B7978FA FF01540C
	v_mul_f32_dpp v189, v12, v189 row_newbcast:5 row_mask:0xf bank_mask:0xf// 000000007738: 0B7B7AFA FF01550C
	v_mul_f32_dpp v190, v12, v190 row_newbcast:6 row_mask:0xf bank_mask:0xf// 000000007740: 0B7D7CFA FF01560C
	v_mul_f32_dpp v191, v12, v191 row_newbcast:7 row_mask:0xf bank_mask:0xf// 000000007748: 0B7F7EFA FF01570C
	v_mul_f32_e32 v188, v18, v188                              // 000000007750: 0B797912
	v_mul_f32_e32 v189, v18, v189                              // 000000007754: 0B7B7B12
	v_mul_f32_e32 v190, v18, v190                              // 000000007758: 0B7D7D12
	v_mul_f32_e32 v191, v18, v191                              // 00000000775C: 0B7F7F12
	v_cvt_f32_i32_e32 v192, v192                               // 000000007760: 7F800BC0
	v_cvt_f32_i32_e32 v193, v193                               // 000000007764: 7F820BC1
	v_cvt_f32_i32_e32 v194, v194                               // 000000007768: 7F840BC2
	v_cvt_f32_i32_e32 v195, v195                               // 00000000776C: 7F860BC3
	v_mul_f32_e32 v192, v22, v192                              // 000000007770: 0B818116
	v_mul_f32_e32 v193, v22, v193                              // 000000007774: 0B838316
	v_mul_f32_e32 v194, v22, v194                              // 000000007778: 0B858516
	v_mul_f32_e32 v195, v22, v195                              // 00000000777C: 0B878716
	v_mul_f32_dpp v192, v12, v192 row_newbcast:8 row_mask:0xf bank_mask:0xf// 000000007780: 0B8180FA FF01580C
	v_mul_f32_dpp v193, v12, v193 row_newbcast:9 row_mask:0xf bank_mask:0xf// 000000007788: 0B8382FA FF01590C
	v_mul_f32_dpp v194, v12, v194 row_newbcast:10 row_mask:0xf bank_mask:0xf// 000000007790: 0B8584FA FF015A0C
	v_mul_f32_dpp v195, v12, v195 row_newbcast:11 row_mask:0xf bank_mask:0xf// 000000007798: 0B8786FA FF015B0C
	v_mul_f32_e32 v192, v17, v192                              // 0000000077A0: 0B818111
	v_mul_f32_e32 v193, v17, v193                              // 0000000077A4: 0B838311
	v_mul_f32_e32 v194, v17, v194                              // 0000000077A8: 0B858511
	v_mul_f32_e32 v195, v17, v195                              // 0000000077AC: 0B878711
	v_cvt_f32_i32_e32 v196, v196                               // 0000000077B0: 7F880BC4
	v_cvt_f32_i32_e32 v197, v197                               // 0000000077B4: 7F8A0BC5
	v_cvt_f32_i32_e32 v198, v198                               // 0000000077B8: 7F8C0BC6
	v_cvt_f32_i32_e32 v199, v199                               // 0000000077BC: 7F8E0BC7
	v_mul_f32_e32 v196, v23, v196                              // 0000000077C0: 0B898917
	v_mul_f32_e32 v197, v23, v197                              // 0000000077C4: 0B8B8B17
	v_mul_f32_e32 v198, v23, v198                              // 0000000077C8: 0B8D8D17
	v_mul_f32_e32 v199, v23, v199                              // 0000000077CC: 0B8F8F17
	v_mul_f32_dpp v196, v12, v196 row_newbcast:8 row_mask:0xf bank_mask:0xf// 0000000077D0: 0B8988FA FF01580C
	v_mul_f32_dpp v197, v12, v197 row_newbcast:9 row_mask:0xf bank_mask:0xf// 0000000077D8: 0B8B8AFA FF01590C
	v_mul_f32_dpp v198, v12, v198 row_newbcast:10 row_mask:0xf bank_mask:0xf// 0000000077E0: 0B8D8CFA FF015A0C
	v_mul_f32_dpp v199, v12, v199 row_newbcast:11 row_mask:0xf bank_mask:0xf// 0000000077E8: 0B8F8EFA FF015B0C
	v_mul_f32_e32 v196, v18, v196                              // 0000000077F0: 0B898912
	v_mul_f32_e32 v197, v18, v197                              // 0000000077F4: 0B8B8B12
	v_mul_f32_e32 v198, v18, v198                              // 0000000077F8: 0B8D8D12
	v_mul_f32_e32 v199, v18, v199                              // 0000000077FC: 0B8F8F12
	v_cvt_f32_i32_e32 v200, v200                               // 000000007800: 7F900BC8
	v_cvt_f32_i32_e32 v201, v201                               // 000000007804: 7F920BC9
	v_cvt_f32_i32_e32 v202, v202                               // 000000007808: 7F940BCA
	v_cvt_f32_i32_e32 v203, v203                               // 00000000780C: 7F960BCB
	v_mul_f32_e32 v200, v22, v200                              // 000000007810: 0B919116
	v_mul_f32_e32 v201, v22, v201                              // 000000007814: 0B939316
	v_mul_f32_e32 v202, v22, v202                              // 000000007818: 0B959516
	v_mul_f32_e32 v203, v22, v203                              // 00000000781C: 0B979716
	v_mul_f32_dpp v200, v12, v200 row_newbcast:12 row_mask:0xf bank_mask:0xf// 000000007820: 0B9190FA FF015C0C
	v_mul_f32_dpp v201, v12, v201 row_newbcast:13 row_mask:0xf bank_mask:0xf// 000000007828: 0B9392FA FF015D0C
	v_mul_f32_dpp v202, v12, v202 row_newbcast:14 row_mask:0xf bank_mask:0xf// 000000007830: 0B9594FA FF015E0C
	v_mul_f32_dpp v203, v12, v203 row_newbcast:15 row_mask:0xf bank_mask:0xf// 000000007838: 0B9796FA FF015F0C
	v_mul_f32_e32 v200, v17, v200                              // 000000007840: 0B919111
	v_mul_f32_e32 v201, v17, v201                              // 000000007844: 0B939311
	v_mul_f32_e32 v202, v17, v202                              // 000000007848: 0B959511
	v_mul_f32_e32 v203, v17, v203                              // 00000000784C: 0B979711
	v_cvt_f32_i32_e32 v204, v204                               // 000000007850: 7F980BCC
	v_cvt_f32_i32_e32 v205, v205                               // 000000007854: 7F9A0BCD
	v_cvt_f32_i32_e32 v206, v206                               // 000000007858: 7F9C0BCE
	v_cvt_f32_i32_e32 v207, v207                               // 00000000785C: 7F9E0BCF
	v_mul_f32_e32 v204, v23, v204                              // 000000007860: 0B999917
	v_mul_f32_e32 v205, v23, v205                              // 000000007864: 0B9B9B17
	v_mul_f32_e32 v206, v23, v206                              // 000000007868: 0B9D9D17
	v_mul_f32_e32 v207, v23, v207                              // 00000000786C: 0B9F9F17
	v_mul_f32_dpp v204, v12, v204 row_newbcast:12 row_mask:0xf bank_mask:0xf// 000000007870: 0B9998FA FF015C0C
	v_mul_f32_dpp v205, v12, v205 row_newbcast:13 row_mask:0xf bank_mask:0xf// 000000007878: 0B9B9AFA FF015D0C
	v_mul_f32_dpp v206, v12, v206 row_newbcast:14 row_mask:0xf bank_mask:0xf// 000000007880: 0B9D9CFA FF015E0C
	v_mul_f32_dpp v207, v12, v207 row_newbcast:15 row_mask:0xf bank_mask:0xf// 000000007888: 0B9F9EFA FF015F0C
	v_mul_f32_e32 v204, v18, v204                              // 000000007890: 0B999912
	v_mul_f32_e32 v205, v18, v205                              // 000000007894: 0B9B9B12
	v_mul_f32_e32 v206, v18, v206                              // 000000007898: 0B9D9D12
	v_mul_f32_e32 v207, v18, v207                              // 00000000789C: 0B9F9F12
	v_cmp_u_f32_e64 s[48:49], v176, v176                       // 0000000078A0: D0480030 000361B0
	v_add3_u32 v38, v176, v41, 1                               // 0000000078A8: D1FF0026 020653B0
	v_cndmask_b32_e64 v44, v38, v40, s[48:49]                  // 0000000078B0: D100002C 00C25126
	v_cmp_u_f32_e64 s[48:49], v177, v177                       // 0000000078B8: D0480030 000363B1
	v_add3_u32 v38, v177, v41, 1                               // 0000000078C0: D1FF0026 020653B1
	v_cndmask_b32_e64 v45, v38, v40, s[48:49]                  // 0000000078C8: D100002D 00C25126
	v_perm_b32 v176, v45, v44, s52                             // 0000000078D0: D1ED00B0 00D2592D
	v_cmp_u_f32_e64 s[48:49], v178, v178                       // 0000000078D8: D0480030 000365B2
	v_add3_u32 v38, v178, v41, 1                               // 0000000078E0: D1FF0026 020653B2
	v_cndmask_b32_e64 v44, v38, v40, s[48:49]                  // 0000000078E8: D100002C 00C25126
	v_cmp_u_f32_e64 s[48:49], v179, v179                       // 0000000078F0: D0480030 000367B3
	v_add3_u32 v38, v179, v41, 1                               // 0000000078F8: D1FF0026 020653B3
	v_cndmask_b32_e64 v45, v38, v40, s[48:49]                  // 000000007900: D100002D 00C25126
	v_perm_b32 v177, v45, v44, s52                             // 000000007908: D1ED00B1 00D2592D
	v_cmp_u_f32_e64 s[48:49], v180, v180                       // 000000007910: D0480030 000369B4
	v_add3_u32 v38, v180, v41, 1                               // 000000007918: D1FF0026 020653B4
	v_cndmask_b32_e64 v44, v38, v40, s[48:49]                  // 000000007920: D100002C 00C25126
	v_cmp_u_f32_e64 s[48:49], v181, v181                       // 000000007928: D0480030 00036BB5
	v_add3_u32 v38, v181, v41, 1                               // 000000007930: D1FF0026 020653B5
	v_cndmask_b32_e64 v45, v38, v40, s[48:49]                  // 000000007938: D100002D 00C25126
	v_perm_b32 v178, v45, v44, s52                             // 000000007940: D1ED00B2 00D2592D
	v_cmp_u_f32_e64 s[48:49], v182, v182                       // 000000007948: D0480030 00036DB6
	v_add3_u32 v38, v182, v41, 1                               // 000000007950: D1FF0026 020653B6
	v_cndmask_b32_e64 v44, v38, v40, s[48:49]                  // 000000007958: D100002C 00C25126
	v_cmp_u_f32_e64 s[48:49], v183, v183                       // 000000007960: D0480030 00036FB7
	v_add3_u32 v38, v183, v41, 1                               // 000000007968: D1FF0026 020653B7
	v_cndmask_b32_e64 v45, v38, v40, s[48:49]                  // 000000007970: D100002D 00C25126
	v_perm_b32 v179, v45, v44, s52                             // 000000007978: D1ED00B3 00D2592D
	v_cmp_u_f32_e64 s[48:49], v184, v184                       // 000000007980: D0480030 000371B8
	v_add3_u32 v38, v184, v41, 1                               // 000000007988: D1FF0026 020653B8
	v_cndmask_b32_e64 v44, v38, v40, s[48:49]                  // 000000007990: D100002C 00C25126
	v_cmp_u_f32_e64 s[48:49], v185, v185                       // 000000007998: D0480030 000373B9
	v_add3_u32 v38, v185, v41, 1                               // 0000000079A0: D1FF0026 020653B9
	v_cndmask_b32_e64 v45, v38, v40, s[48:49]                  // 0000000079A8: D100002D 00C25126
	v_perm_b32 v180, v45, v44, s52                             // 0000000079B0: D1ED00B4 00D2592D
	v_cmp_u_f32_e64 s[48:49], v186, v186                       // 0000000079B8: D0480030 000375BA
	v_add3_u32 v38, v186, v41, 1                               // 0000000079C0: D1FF0026 020653BA
	v_cndmask_b32_e64 v44, v38, v40, s[48:49]                  // 0000000079C8: D100002C 00C25126
	v_cmp_u_f32_e64 s[48:49], v187, v187                       // 0000000079D0: D0480030 000377BB
	v_add3_u32 v38, v187, v41, 1                               // 0000000079D8: D1FF0026 020653BB
	v_cndmask_b32_e64 v45, v38, v40, s[48:49]                  // 0000000079E0: D100002D 00C25126
	v_perm_b32 v181, v45, v44, s52                             // 0000000079E8: D1ED00B5 00D2592D
	v_cmp_u_f32_e64 s[48:49], v188, v188                       // 0000000079F0: D0480030 000379BC
	v_add3_u32 v38, v188, v41, 1                               // 0000000079F8: D1FF0026 020653BC
	v_cndmask_b32_e64 v44, v38, v40, s[48:49]                  // 000000007A00: D100002C 00C25126
	v_cmp_u_f32_e64 s[48:49], v189, v189                       // 000000007A08: D0480030 00037BBD
	v_add3_u32 v38, v189, v41, 1                               // 000000007A10: D1FF0026 020653BD
	v_cndmask_b32_e64 v45, v38, v40, s[48:49]                  // 000000007A18: D100002D 00C25126
	v_perm_b32 v182, v45, v44, s52                             // 000000007A20: D1ED00B6 00D2592D
	v_cmp_u_f32_e64 s[48:49], v190, v190                       // 000000007A28: D0480030 00037DBE
	v_add3_u32 v38, v190, v41, 1                               // 000000007A30: D1FF0026 020653BE
	v_cndmask_b32_e64 v44, v38, v40, s[48:49]                  // 000000007A38: D100002C 00C25126
	v_cmp_u_f32_e64 s[48:49], v191, v191                       // 000000007A40: D0480030 00037FBF
	v_add3_u32 v38, v191, v41, 1                               // 000000007A48: D1FF0026 020653BF
	v_cndmask_b32_e64 v45, v38, v40, s[48:49]                  // 000000007A50: D100002D 00C25126
	v_perm_b32 v183, v45, v44, s52                             // 000000007A58: D1ED00B7 00D2592D
	v_cmp_u_f32_e64 s[48:49], v192, v192                       // 000000007A60: D0480030 000381C0
	v_add3_u32 v38, v192, v41, 1                               // 000000007A68: D1FF0026 020653C0
	v_cndmask_b32_e64 v44, v38, v40, s[48:49]                  // 000000007A70: D100002C 00C25126
	v_cmp_u_f32_e64 s[48:49], v193, v193                       // 000000007A78: D0480030 000383C1
	v_add3_u32 v38, v193, v41, 1                               // 000000007A80: D1FF0026 020653C1
	v_cndmask_b32_e64 v45, v38, v40, s[48:49]                  // 000000007A88: D100002D 00C25126
	v_perm_b32 v184, v45, v44, s52                             // 000000007A90: D1ED00B8 00D2592D
	v_cmp_u_f32_e64 s[48:49], v194, v194                       // 000000007A98: D0480030 000385C2
	v_add3_u32 v38, v194, v41, 1                               // 000000007AA0: D1FF0026 020653C2
	v_cndmask_b32_e64 v44, v38, v40, s[48:49]                  // 000000007AA8: D100002C 00C25126
	v_cmp_u_f32_e64 s[48:49], v195, v195                       // 000000007AB0: D0480030 000387C3
	v_add3_u32 v38, v195, v41, 1                               // 000000007AB8: D1FF0026 020653C3
	v_cndmask_b32_e64 v45, v38, v40, s[48:49]                  // 000000007AC0: D100002D 00C25126
	v_perm_b32 v185, v45, v44, s52                             // 000000007AC8: D1ED00B9 00D2592D
	v_cmp_u_f32_e64 s[48:49], v196, v196                       // 000000007AD0: D0480030 000389C4
	v_add3_u32 v38, v196, v41, 1                               // 000000007AD8: D1FF0026 020653C4
	v_cndmask_b32_e64 v44, v38, v40, s[48:49]                  // 000000007AE0: D100002C 00C25126
	v_cmp_u_f32_e64 s[48:49], v197, v197                       // 000000007AE8: D0480030 00038BC5
	v_add3_u32 v38, v197, v41, 1                               // 000000007AF0: D1FF0026 020653C5
	v_cndmask_b32_e64 v45, v38, v40, s[48:49]                  // 000000007AF8: D100002D 00C25126
	v_perm_b32 v186, v45, v44, s52                             // 000000007B00: D1ED00BA 00D2592D
	v_cmp_u_f32_e64 s[48:49], v198, v198                       // 000000007B08: D0480030 00038DC6
	v_add3_u32 v38, v198, v41, 1                               // 000000007B10: D1FF0026 020653C6
	v_cndmask_b32_e64 v44, v38, v40, s[48:49]                  // 000000007B18: D100002C 00C25126
	v_cmp_u_f32_e64 s[48:49], v199, v199                       // 000000007B20: D0480030 00038FC7
	v_add3_u32 v38, v199, v41, 1                               // 000000007B28: D1FF0026 020653C7
	v_cndmask_b32_e64 v45, v38, v40, s[48:49]                  // 000000007B30: D100002D 00C25126
	v_perm_b32 v187, v45, v44, s52                             // 000000007B38: D1ED00BB 00D2592D
	v_cmp_u_f32_e64 s[48:49], v200, v200                       // 000000007B40: D0480030 000391C8
	v_add3_u32 v38, v200, v41, 1                               // 000000007B48: D1FF0026 020653C8
	v_cndmask_b32_e64 v44, v38, v40, s[48:49]                  // 000000007B50: D100002C 00C25126
	v_cmp_u_f32_e64 s[48:49], v201, v201                       // 000000007B58: D0480030 000393C9
	v_add3_u32 v38, v201, v41, 1                               // 000000007B60: D1FF0026 020653C9
	v_cndmask_b32_e64 v45, v38, v40, s[48:49]                  // 000000007B68: D100002D 00C25126
	v_perm_b32 v188, v45, v44, s52                             // 000000007B70: D1ED00BC 00D2592D
	v_cmp_u_f32_e64 s[48:49], v202, v202                       // 000000007B78: D0480030 000395CA
	v_add3_u32 v38, v202, v41, 1                               // 000000007B80: D1FF0026 020653CA
	v_cndmask_b32_e64 v44, v38, v40, s[48:49]                  // 000000007B88: D100002C 00C25126
	v_cmp_u_f32_e64 s[48:49], v203, v203                       // 000000007B90: D0480030 000397CB
	v_add3_u32 v38, v203, v41, 1                               // 000000007B98: D1FF0026 020653CB
	v_cndmask_b32_e64 v45, v38, v40, s[48:49]                  // 000000007BA0: D100002D 00C25126
	v_perm_b32 v189, v45, v44, s52                             // 000000007BA8: D1ED00BD 00D2592D
	v_cmp_u_f32_e64 s[48:49], v204, v204                       // 000000007BB0: D0480030 000399CC
	v_add3_u32 v38, v204, v41, 1                               // 000000007BB8: D1FF0026 020653CC
	v_cndmask_b32_e64 v44, v38, v40, s[48:49]                  // 000000007BC0: D100002C 00C25126
	v_cmp_u_f32_e64 s[48:49], v205, v205                       // 000000007BC8: D0480030 00039BCD
	v_add3_u32 v38, v205, v41, 1                               // 000000007BD0: D1FF0026 020653CD
	v_cndmask_b32_e64 v45, v38, v40, s[48:49]                  // 000000007BD8: D100002D 00C25126
	v_perm_b32 v190, v45, v44, s52                             // 000000007BE0: D1ED00BE 00D2592D
	v_cmp_u_f32_e64 s[48:49], v206, v206                       // 000000007BE8: D0480030 00039DCE
	v_add3_u32 v38, v206, v41, 1                               // 000000007BF0: D1FF0026 020653CE
	v_cndmask_b32_e64 v44, v38, v40, s[48:49]                  // 000000007BF8: D100002C 00C25126
	v_cmp_u_f32_e64 s[48:49], v207, v207                       // 000000007C00: D0480030 00039FCF
	v_add3_u32 v38, v207, v41, 1                               // 000000007C08: D1FF0026 020653CF
	v_cndmask_b32_e64 v45, v38, v40, s[48:49]                  // 000000007C10: D100002D 00C25126
	v_perm_b32 v191, v45, v44, s52                             // 000000007C18: D1ED00BF 00D2592D
	ds_write_b64 v3, v[176:177] offset:22784                   // 000000007C20: D89A5900 0000B003
	ds_write_b64 v3, v[178:179] offset:31488                   // 000000007C28: D89A7B00 0000B203
	ds_write_b64 v3, v[180:181] offset:24960                   // 000000007C30: D89A6180 0000B403
	ds_write_b64 v3, v[182:183] offset:33664                   // 000000007C38: D89A8380 0000B603
	ds_write_b64 v3, v[184:185] offset:27136                   // 000000007C40: D89A6A00 0000B803
	ds_write_b64 v3, v[186:187] offset:35840                   // 000000007C48: D89A8C00 0000BA03
	ds_write_b64 v3, v[188:189] offset:29312                   // 000000007C50: D89A7280 0000BC03
	ds_write_b64 v3, v[190:191] offset:38016                   // 000000007C58: D89A9480 0000BE03
	s_waitcnt lgkmcnt(0)                                       // 000000007C60: BF8CC07F
	s_barrier                                                  // 000000007C64: BF8A0000
	ds_read_b32 v64, v4 offset:22784                           // 000000007C68: D86C5900 40000004
	ds_read_b32 v65, v4 offset:27136                           // 000000007C70: D86C6A00 41000004
	ds_read_b32 v66, v4 offset:22816                           // 000000007C78: D86C5920 42000004
	ds_read_b32 v67, v4 offset:27168                           // 000000007C80: D86C6A20 43000004
	ds_read_b32 v68, v4 offset:22848                           // 000000007C88: D86C5940 44000004
	ds_read_b32 v69, v4 offset:27200                           // 000000007C90: D86C6A40 45000004
	ds_read_b32 v70, v4 offset:22880                           // 000000007C98: D86C5960 46000004
	ds_read_b32 v71, v4 offset:27232                           // 000000007CA0: D86C6A60 47000004
	ds_read_b32 v72, v4 offset:31488                           // 000000007CA8: D86C7B00 48000004
	ds_read_b32 v73, v4 offset:35840                           // 000000007CB0: D86C8C00 49000004
	ds_read_b32 v74, v4 offset:31520                           // 000000007CB8: D86C7B20 4A000004
	ds_read_b32 v75, v4 offset:35872                           // 000000007CC0: D86C8C20 4B000004
	ds_read_b32 v76, v4 offset:31552                           // 000000007CC8: D86C7B40 4C000004
	ds_read_b32 v77, v4 offset:35904                           // 000000007CD0: D86C8C40 4D000004
	ds_read_b32 v78, v4 offset:31584                           // 000000007CD8: D86C7B60 4E000004
	ds_read_b32 v79, v4 offset:35936                           // 000000007CE0: D86C8C60 4F000004
	s_waitcnt lgkmcnt(0)                                       // 000000007CE8: BF8CC07F
	s_mov_b64 exec, s[20:21]                                   // 000000007CEC: BEFE0114
	global_atomic_pk_add_bf16 v80, v64, s[8:9]                 // 000000007CF0: DD488000 00084050
	s_mov_b64 exec, s[36:37]                                   // 000000007CF8: BEFE0124
	s_mov_b64 exec, s[20:21]                                   // 000000007CFC: BEFE0114
	global_atomic_pk_add_bf16 v80, v65, s[8:9] offset:256      // 000000007D00: DD488100 00084150
	s_mov_b64 exec, s[36:37]                                   // 000000007D08: BEFE0124
	s_mov_b64 exec, s[22:23]                                   // 000000007D0C: BEFE0116
	global_atomic_pk_add_bf16 v82, v66, s[8:9]                 // 000000007D10: DD488000 00084252
	s_mov_b64 exec, s[36:37]                                   // 000000007D18: BEFE0124
	s_mov_b64 exec, s[22:23]                                   // 000000007D1C: BEFE0116
	global_atomic_pk_add_bf16 v82, v67, s[8:9] offset:256      // 000000007D20: DD488100 00084352
	s_mov_b64 exec, s[36:37]                                   // 000000007D28: BEFE0124
	s_mov_b64 exec, s[24:25]                                   // 000000007D2C: BEFE0118
	global_atomic_pk_add_bf16 v84, v68, s[8:9]                 // 000000007D30: DD488000 00084454
	s_mov_b64 exec, s[36:37]                                   // 000000007D38: BEFE0124
	s_mov_b64 exec, s[24:25]                                   // 000000007D3C: BEFE0118
	global_atomic_pk_add_bf16 v84, v69, s[8:9] offset:256      // 000000007D40: DD488100 00084554
	s_mov_b64 exec, s[36:37]                                   // 000000007D48: BEFE0124
	s_mov_b64 exec, s[26:27]                                   // 000000007D4C: BEFE011A
	global_atomic_pk_add_bf16 v86, v70, s[8:9]                 // 000000007D50: DD488000 00084656
	s_mov_b64 exec, s[36:37]                                   // 000000007D58: BEFE0124
	s_mov_b64 exec, s[26:27]                                   // 000000007D5C: BEFE011A
	global_atomic_pk_add_bf16 v86, v71, s[8:9] offset:256      // 000000007D60: DD488100 00084756
	s_mov_b64 exec, s[36:37]                                   // 000000007D68: BEFE0124
	s_mov_b64 exec, s[28:29]                                   // 000000007D6C: BEFE011C
	global_atomic_pk_add_bf16 v88, v72, s[8:9]                 // 000000007D70: DD488000 00084858
	s_mov_b64 exec, s[36:37]                                   // 000000007D78: BEFE0124
	s_mov_b64 exec, s[28:29]                                   // 000000007D7C: BEFE011C
	global_atomic_pk_add_bf16 v88, v73, s[8:9] offset:256      // 000000007D80: DD488100 00084958
	s_mov_b64 exec, s[36:37]                                   // 000000007D88: BEFE0124
	s_mov_b64 exec, s[30:31]                                   // 000000007D8C: BEFE011E
	global_atomic_pk_add_bf16 v90, v74, s[8:9]                 // 000000007D90: DD488000 00084A5A
	s_mov_b64 exec, s[36:37]                                   // 000000007D98: BEFE0124
	s_mov_b64 exec, s[30:31]                                   // 000000007D9C: BEFE011E
	global_atomic_pk_add_bf16 v90, v75, s[8:9] offset:256      // 000000007DA0: DD488100 00084B5A
	s_mov_b64 exec, s[36:37]                                   // 000000007DA8: BEFE0124
	s_mov_b64 exec, s[32:33]                                   // 000000007DAC: BEFE0120
	global_atomic_pk_add_bf16 v92, v76, s[8:9]                 // 000000007DB0: DD488000 00084C5C
	s_mov_b64 exec, s[36:37]                                   // 000000007DB8: BEFE0124
	s_mov_b64 exec, s[32:33]                                   // 000000007DBC: BEFE0120
	global_atomic_pk_add_bf16 v92, v77, s[8:9] offset:256      // 000000007DC0: DD488100 00084D5C
	s_mov_b64 exec, s[36:37]                                   // 000000007DC8: BEFE0124
	s_mov_b64 exec, s[34:35]                                   // 000000007DCC: BEFE0122
	global_atomic_pk_add_bf16 v94, v78, s[8:9]                 // 000000007DD0: DD488000 00084E5E
	s_mov_b64 exec, s[36:37]                                   // 000000007DD8: BEFE0124
	s_mov_b64 exec, s[34:35]                                   // 000000007DDC: BEFE0122
	global_atomic_pk_add_bf16 v94, v79, s[8:9] offset:256      // 000000007DE0: DD488100 00084F5E
	s_mov_b64 exec, s[36:37]                                   // 000000007DE8: BEFE0124
	s_add_u32 s8, s59, s8                                      // 000000007DEC: 8008083B
	s_addc_u32 s9, 0, s9                                       // 000000007DF0: 82090980
	s_addk_i32 s80, 0x100                                      // 000000007DF4: B7500100
	s_cmp_lt_i32 s80, s81                                      // 000000007DF8: BF045150
	s_cbranch_scc0 label_0B46                                  // 000000007DFC: BF84F746
	s_branch label_0F4E                                        // 000000007E00: BF82FB4D

0000000000007e04 <label_1401>:
	s_waitcnt vmcnt(0) expcnt(0) lgkmcnt(0)                    // 000000007E04: BF8C0000
	s_add_u32 s100, s100, 1                                    // 000000007E08: 80648164
	s_cmp_eq_u32 s96, 0                                        // 000000007E0C: BF068060
	s_cbranch_scc0 label_0039                                  // 000000007E10: BF84EC34

0000000000007e14 <label_1405>:
	s_waitcnt vmcnt(0) expcnt(0) lgkmcnt(0)                    // 000000007E14: BF8C0000
	s_endpgm                                                   // 000000007E18: BF810000
